;; amdgpu-corpus repo=ROCm/rocFFT kind=compiled arch=gfx1030 opt=O3
	.text
	.amdgcn_target "amdgcn-amd-amdhsa--gfx1030"
	.amdhsa_code_object_version 6
	.protected	fft_rtc_back_len1352_factors_2_13_13_4_wgs_52_tpt_52_halfLds_dp_op_CI_CI_unitstride_sbrr_dirReg ; -- Begin function fft_rtc_back_len1352_factors_2_13_13_4_wgs_52_tpt_52_halfLds_dp_op_CI_CI_unitstride_sbrr_dirReg
	.globl	fft_rtc_back_len1352_factors_2_13_13_4_wgs_52_tpt_52_halfLds_dp_op_CI_CI_unitstride_sbrr_dirReg
	.p2align	8
	.type	fft_rtc_back_len1352_factors_2_13_13_4_wgs_52_tpt_52_halfLds_dp_op_CI_CI_unitstride_sbrr_dirReg,@function
fft_rtc_back_len1352_factors_2_13_13_4_wgs_52_tpt_52_halfLds_dp_op_CI_CI_unitstride_sbrr_dirReg: ; @fft_rtc_back_len1352_factors_2_13_13_4_wgs_52_tpt_52_halfLds_dp_op_CI_CI_unitstride_sbrr_dirReg
; %bb.0:
	s_clause 0x2
	s_load_dwordx4 s[8:11], s[4:5], 0x0
	s_load_dwordx4 s[12:15], s[4:5], 0x58
	;; [unrolled: 1-line block ×3, first 2 shown]
	v_mul_u32_u24_e32 v2, 0x4ed, v0
	v_mov_b32_e32 v1, 0
	s_mov_b64 s[50:51], s[2:3]
	s_mov_b64 s[48:49], s[0:1]
	v_mov_b32_e32 v4, 0
	v_add_nc_u32_sdwa v6, s6, v2 dst_sel:DWORD dst_unused:UNUSED_PAD src0_sel:DWORD src1_sel:WORD_1
	v_mov_b32_e32 v7, v1
	v_mov_b32_e32 v5, 0
	s_add_u32 s48, s48, s7
	s_addc_u32 s49, s49, 0
	s_waitcnt lgkmcnt(0)
	v_cmp_lt_u64_e64 s0, s[10:11], 2
	s_and_b32 vcc_lo, exec_lo, s0
	s_cbranch_vccnz .LBB0_8
; %bb.1:
	s_load_dwordx2 s[0:1], s[4:5], 0x10
	v_mov_b32_e32 v4, 0
	v_mov_b32_e32 v5, 0
	s_add_u32 s2, s18, 8
	s_addc_u32 s3, s19, 0
	s_add_u32 s6, s16, 8
	s_addc_u32 s7, s17, 0
	v_mov_b32_e32 v169, v5
	v_mov_b32_e32 v168, v4
	s_mov_b64 s[22:23], 1
	s_waitcnt lgkmcnt(0)
	s_add_u32 s20, s0, 8
	s_addc_u32 s21, s1, 0
.LBB0_2:                                ; =>This Inner Loop Header: Depth=1
	s_load_dwordx2 s[24:25], s[20:21], 0x0
                                        ; implicit-def: $vgpr170_vgpr171
	s_mov_b32 s0, exec_lo
	s_waitcnt lgkmcnt(0)
	v_or_b32_e32 v2, s25, v7
	v_cmpx_ne_u64_e32 0, v[1:2]
	s_xor_b32 s1, exec_lo, s0
	s_cbranch_execz .LBB0_4
; %bb.3:                                ;   in Loop: Header=BB0_2 Depth=1
	v_cvt_f32_u32_e32 v2, s24
	v_cvt_f32_u32_e32 v3, s25
	s_sub_u32 s0, 0, s24
	s_subb_u32 s26, 0, s25
	v_fmac_f32_e32 v2, 0x4f800000, v3
	v_rcp_f32_e32 v2, v2
	v_mul_f32_e32 v2, 0x5f7ffffc, v2
	v_mul_f32_e32 v3, 0x2f800000, v2
	v_trunc_f32_e32 v3, v3
	v_fmac_f32_e32 v2, 0xcf800000, v3
	v_cvt_u32_f32_e32 v3, v3
	v_cvt_u32_f32_e32 v2, v2
	v_mul_lo_u32 v8, s0, v3
	v_mul_hi_u32 v9, s0, v2
	v_mul_lo_u32 v10, s26, v2
	v_add_nc_u32_e32 v8, v9, v8
	v_mul_lo_u32 v9, s0, v2
	v_add_nc_u32_e32 v8, v8, v10
	v_mul_hi_u32 v10, v2, v9
	v_mul_lo_u32 v11, v2, v8
	v_mul_hi_u32 v12, v2, v8
	v_mul_hi_u32 v13, v3, v9
	v_mul_lo_u32 v9, v3, v9
	v_mul_hi_u32 v14, v3, v8
	v_mul_lo_u32 v8, v3, v8
	v_add_co_u32 v10, vcc_lo, v10, v11
	v_add_co_ci_u32_e32 v11, vcc_lo, 0, v12, vcc_lo
	v_add_co_u32 v9, vcc_lo, v10, v9
	v_add_co_ci_u32_e32 v9, vcc_lo, v11, v13, vcc_lo
	v_add_co_ci_u32_e32 v10, vcc_lo, 0, v14, vcc_lo
	v_add_co_u32 v8, vcc_lo, v9, v8
	v_add_co_ci_u32_e32 v9, vcc_lo, 0, v10, vcc_lo
	v_add_co_u32 v2, vcc_lo, v2, v8
	v_add_co_ci_u32_e32 v3, vcc_lo, v3, v9, vcc_lo
	v_mul_hi_u32 v8, s0, v2
	v_mul_lo_u32 v10, s26, v2
	v_mul_lo_u32 v9, s0, v3
	v_add_nc_u32_e32 v8, v8, v9
	v_mul_lo_u32 v9, s0, v2
	v_add_nc_u32_e32 v8, v8, v10
	v_mul_hi_u32 v10, v2, v9
	v_mul_lo_u32 v11, v2, v8
	v_mul_hi_u32 v12, v2, v8
	v_mul_hi_u32 v13, v3, v9
	v_mul_lo_u32 v9, v3, v9
	v_mul_hi_u32 v14, v3, v8
	v_mul_lo_u32 v8, v3, v8
	v_add_co_u32 v10, vcc_lo, v10, v11
	v_add_co_ci_u32_e32 v11, vcc_lo, 0, v12, vcc_lo
	v_add_co_u32 v9, vcc_lo, v10, v9
	v_add_co_ci_u32_e32 v9, vcc_lo, v11, v13, vcc_lo
	v_add_co_ci_u32_e32 v10, vcc_lo, 0, v14, vcc_lo
	v_add_co_u32 v8, vcc_lo, v9, v8
	v_add_co_ci_u32_e32 v9, vcc_lo, 0, v10, vcc_lo
	v_add_co_u32 v8, vcc_lo, v2, v8
	v_add_co_ci_u32_e32 v10, vcc_lo, v3, v9, vcc_lo
	v_mul_hi_u32 v12, v6, v8
	v_mad_u64_u32 v[8:9], null, v7, v8, 0
	v_mad_u64_u32 v[2:3], null, v6, v10, 0
	;; [unrolled: 1-line block ×3, first 2 shown]
	v_add_co_u32 v2, vcc_lo, v12, v2
	v_add_co_ci_u32_e32 v3, vcc_lo, 0, v3, vcc_lo
	v_add_co_u32 v2, vcc_lo, v2, v8
	v_add_co_ci_u32_e32 v2, vcc_lo, v3, v9, vcc_lo
	v_add_co_ci_u32_e32 v3, vcc_lo, 0, v11, vcc_lo
	v_add_co_u32 v8, vcc_lo, v2, v10
	v_add_co_ci_u32_e32 v9, vcc_lo, 0, v3, vcc_lo
	v_mul_lo_u32 v10, s25, v8
	v_mad_u64_u32 v[2:3], null, s24, v8, 0
	v_mul_lo_u32 v11, s24, v9
	v_sub_co_u32 v2, vcc_lo, v6, v2
	v_add3_u32 v3, v3, v11, v10
	v_sub_nc_u32_e32 v10, v7, v3
	v_subrev_co_ci_u32_e64 v10, s0, s25, v10, vcc_lo
	v_add_co_u32 v11, s0, v8, 2
	v_add_co_ci_u32_e64 v12, s0, 0, v9, s0
	v_sub_co_u32 v13, s0, v2, s24
	v_sub_co_ci_u32_e32 v3, vcc_lo, v7, v3, vcc_lo
	v_subrev_co_ci_u32_e64 v10, s0, 0, v10, s0
	v_cmp_le_u32_e32 vcc_lo, s24, v13
	v_cmp_eq_u32_e64 s0, s25, v3
	v_cndmask_b32_e64 v13, 0, -1, vcc_lo
	v_cmp_le_u32_e32 vcc_lo, s25, v10
	v_cndmask_b32_e64 v14, 0, -1, vcc_lo
	v_cmp_le_u32_e32 vcc_lo, s24, v2
	;; [unrolled: 2-line block ×3, first 2 shown]
	v_cndmask_b32_e64 v15, 0, -1, vcc_lo
	v_cmp_eq_u32_e32 vcc_lo, s25, v10
	v_cndmask_b32_e64 v2, v15, v2, s0
	v_cndmask_b32_e32 v10, v14, v13, vcc_lo
	v_add_co_u32 v13, vcc_lo, v8, 1
	v_add_co_ci_u32_e32 v14, vcc_lo, 0, v9, vcc_lo
	v_cmp_ne_u32_e32 vcc_lo, 0, v10
	v_cndmask_b32_e32 v3, v14, v12, vcc_lo
	v_cndmask_b32_e32 v10, v13, v11, vcc_lo
	v_cmp_ne_u32_e32 vcc_lo, 0, v2
	v_cndmask_b32_e32 v171, v9, v3, vcc_lo
	v_cndmask_b32_e32 v170, v8, v10, vcc_lo
.LBB0_4:                                ;   in Loop: Header=BB0_2 Depth=1
	s_andn2_saveexec_b32 s0, s1
	s_cbranch_execz .LBB0_6
; %bb.5:                                ;   in Loop: Header=BB0_2 Depth=1
	v_cvt_f32_u32_e32 v2, s24
	s_sub_i32 s1, 0, s24
	v_mov_b32_e32 v171, v1
	v_rcp_iflag_f32_e32 v2, v2
	v_mul_f32_e32 v2, 0x4f7ffffe, v2
	v_cvt_u32_f32_e32 v2, v2
	v_mul_lo_u32 v3, s1, v2
	v_mul_hi_u32 v3, v2, v3
	v_add_nc_u32_e32 v2, v2, v3
	v_mul_hi_u32 v2, v6, v2
	v_mul_lo_u32 v3, v2, s24
	v_add_nc_u32_e32 v8, 1, v2
	v_sub_nc_u32_e32 v3, v6, v3
	v_subrev_nc_u32_e32 v9, s24, v3
	v_cmp_le_u32_e32 vcc_lo, s24, v3
	v_cndmask_b32_e32 v3, v3, v9, vcc_lo
	v_cndmask_b32_e32 v2, v2, v8, vcc_lo
	v_cmp_le_u32_e32 vcc_lo, s24, v3
	v_add_nc_u32_e32 v8, 1, v2
	v_cndmask_b32_e32 v170, v2, v8, vcc_lo
.LBB0_6:                                ;   in Loop: Header=BB0_2 Depth=1
	s_or_b32 exec_lo, exec_lo, s0
	v_mul_lo_u32 v8, v171, s24
	v_mul_lo_u32 v9, v170, s25
	s_load_dwordx2 s[0:1], s[6:7], 0x0
	v_mad_u64_u32 v[2:3], null, v170, s24, 0
	s_load_dwordx2 s[24:25], s[2:3], 0x0
	s_add_u32 s22, s22, 1
	s_addc_u32 s23, s23, 0
	s_add_u32 s2, s2, 8
	s_addc_u32 s3, s3, 0
	s_add_u32 s6, s6, 8
	v_add3_u32 v3, v3, v9, v8
	v_sub_co_u32 v2, vcc_lo, v6, v2
	s_addc_u32 s7, s7, 0
	s_add_u32 s20, s20, 8
	v_sub_co_ci_u32_e32 v3, vcc_lo, v7, v3, vcc_lo
	s_addc_u32 s21, s21, 0
	s_waitcnt lgkmcnt(0)
	v_mul_lo_u32 v6, s0, v3
	v_mul_lo_u32 v7, s1, v2
	v_mad_u64_u32 v[4:5], null, s0, v2, v[4:5]
	v_mul_lo_u32 v3, s24, v3
	v_mul_lo_u32 v8, s25, v2
	v_mad_u64_u32 v[168:169], null, s24, v2, v[168:169]
	v_cmp_ge_u64_e64 s0, s[22:23], s[10:11]
	v_add3_u32 v5, v7, v5, v6
	v_add3_u32 v169, v8, v169, v3
	s_and_b32 vcc_lo, exec_lo, s0
	s_cbranch_vccnz .LBB0_9
; %bb.7:                                ;   in Loop: Header=BB0_2 Depth=1
	v_mov_b32_e32 v6, v170
	v_mov_b32_e32 v7, v171
	s_branch .LBB0_2
.LBB0_8:
	v_mov_b32_e32 v169, v5
	v_mov_b32_e32 v171, v7
	;; [unrolled: 1-line block ×4, first 2 shown]
.LBB0_9:
	s_load_dwordx2 s[0:1], s[4:5], 0x28
	v_mul_hi_u32 v1, 0x4ec4ec5, v0
	s_lshl_b64 s[4:5], s[10:11], 3
                                        ; implicit-def: $vgpr190
	s_add_u32 s2, s18, s4
	s_addc_u32 s3, s19, s5
	s_waitcnt lgkmcnt(0)
	v_cmp_gt_u64_e32 vcc_lo, s[0:1], v[170:171]
	v_cmp_le_u64_e64 s0, s[0:1], v[170:171]
	s_and_saveexec_b32 s1, s0
	s_xor_b32 s0, exec_lo, s1
; %bb.10:
	v_mul_u32_u24_e32 v1, 52, v1
                                        ; implicit-def: $vgpr4_vgpr5
	v_sub_nc_u32_e32 v190, v0, v1
                                        ; implicit-def: $vgpr1
                                        ; implicit-def: $vgpr0
; %bb.11:
	s_or_saveexec_b32 s1, s0
                                        ; implicit-def: $vgpr38_vgpr39
                                        ; implicit-def: $vgpr2_vgpr3
                                        ; implicit-def: $vgpr14_vgpr15
                                        ; implicit-def: $vgpr6_vgpr7
                                        ; implicit-def: $vgpr10_vgpr11
                                        ; implicit-def: $vgpr62_vgpr63
                                        ; implicit-def: $vgpr82_vgpr83
                                        ; implicit-def: $vgpr58_vgpr59
                                        ; implicit-def: $vgpr66_vgpr67
                                        ; implicit-def: $vgpr42_vgpr43
                                        ; implicit-def: $vgpr70_vgpr71
                                        ; implicit-def: $vgpr50_vgpr51
                                        ; implicit-def: $vgpr78_vgpr79
                                        ; implicit-def: $vgpr46_vgpr47
                                        ; implicit-def: $vgpr106_vgpr107
                                        ; implicit-def: $vgpr74_vgpr75
                                        ; implicit-def: $vgpr114_vgpr115
                                        ; implicit-def: $vgpr110_vgpr111
                                        ; implicit-def: $vgpr122_vgpr123
                                        ; implicit-def: $vgpr118_vgpr119
                                        ; implicit-def: $vgpr86_vgpr87
                                        ; implicit-def: $vgpr18_vgpr19
                                        ; implicit-def: $vgpr26_vgpr27
                                        ; implicit-def: $vgpr22_vgpr23
                                        ; implicit-def: $vgpr30_vgpr31
                                        ; implicit-def: $vgpr34_vgpr35
	s_xor_b32 exec_lo, exec_lo, s1
	s_cbranch_execz .LBB0_13
; %bb.12:
	s_add_u32 s4, s16, s4
	s_addc_u32 s5, s17, s5
	s_load_dwordx2 s[4:5], s[4:5], 0x0
	s_waitcnt lgkmcnt(0)
	v_mul_lo_u32 v6, s5, v170
	v_mul_lo_u32 v7, s4, v171
	v_mad_u64_u32 v[2:3], null, s4, v170, 0
	v_add3_u32 v3, v3, v7, v6
	v_mul_u32_u24_e32 v6, 52, v1
	v_lshlrev_b64 v[1:2], 4, v[2:3]
	v_sub_nc_u32_e32 v190, v0, v6
	v_lshlrev_b64 v[3:4], 4, v[4:5]
	v_add_co_u32 v0, s0, s12, v1
	v_add_co_ci_u32_e64 v1, s0, s13, v2, s0
	v_lshlrev_b32_e32 v2, 4, v190
	v_add_co_u32 v0, s0, v0, v3
	v_add_co_ci_u32_e64 v1, s0, v1, v4, s0
	v_or_b32_e32 v3, 0x3400, v2
	v_add_co_u32 v40, s0, v0, v2
	v_add_co_ci_u32_e64 v41, s0, 0, v1, s0
	v_add_co_u32 v4, s0, v0, v3
	v_add_co_ci_u32_e64 v5, s0, 0, v1, s0
	;; [unrolled: 2-line block ×12, first 2 shown]
	s_clause 0x19
	global_load_dwordx4 v[32:35], v[40:41], off
	global_load_dwordx4 v[0:3], v[40:41], off offset:832
	global_load_dwordx4 v[36:39], v[6:7], off offset:576
	;; [unrolled: 1-line block ×5, first 2 shown]
	global_load_dwordx4 v[24:27], v[4:5], off
	global_load_dwordx4 v[16:19], v[10:11], off offset:1280
	global_load_dwordx4 v[4:7], v[10:11], off offset:448
	;; [unrolled: 1-line block ×19, first 2 shown]
.LBB0_13:
	s_or_b32 exec_lo, exec_lo, s1
	s_waitcnt vmcnt(23)
	v_add_f64 v[126:127], v[32:33], -v[36:37]
	s_waitcnt vmcnt(21)
	v_add_f64 v[90:91], v[2:3], -v[30:31]
	;; [unrolled: 2-line block ×3, first 2 shown]
	v_add_f64 v[54:55], v[34:35], -v[38:39]
	v_add_f64 v[36:37], v[20:21], -v[12:13]
	s_waitcnt vmcnt(2)
	v_add_f64 v[70:71], v[74:75], -v[70:71]
	v_add_f64 v[98:99], v[6:7], -v[26:27]
	;; [unrolled: 1-line block ×8, first 2 shown]
	s_waitcnt vmcnt(0)
	v_add_f64 v[78:79], v[46:47], -v[78:79]
	v_add_nc_u32_e32 v136, 52, v190
	s_load_dwordx2 s[2:3], s[2:3], 0x0
	v_lshl_add_u32 v156, v190, 3, 0
	v_and_b32_e32 v139, 1, v190
	s_mov_b32 s4, 0x4267c47c
	s_mov_b32 s12, 0x42a4c3d2
	;; [unrolled: 1-line block ×3, first 2 shown]
	v_add_nc_u32_e32 v157, 0x400, v156
	v_fma_f64 v[124:125], v[32:33], 2.0, -v[126:127]
	v_add_f64 v[32:33], v[0:1], -v[28:29]
	v_fma_f64 v[88:89], v[2:3], 2.0, -v[90:91]
	v_add_f64 v[2:3], v[58:59], -v[122:123]
	;; [unrolled: 2-line block ×3, first 2 shown]
	v_fma_f64 v[52:53], v[34:35], 2.0, -v[54:55]
	v_fma_f64 v[34:35], v[20:21], 2.0, -v[36:37]
	;; [unrolled: 1-line block ×3, first 2 shown]
	v_add_f64 v[6:7], v[16:17], -v[8:9]
	v_fma_f64 v[100:101], v[18:19], 2.0, -v[102:103]
	v_add_f64 v[18:19], v[116:117], -v[80:81]
	v_fma_f64 v[24:25], v[108:109], 2.0, -v[26:27]
	;; [unrolled: 2-line block ×5, first 2 shown]
	v_lshl_add_u32 v104, v190, 4, 0
	v_lshl_add_u32 v105, v136, 4, 0
	v_fma_f64 v[80:81], v[118:119], 2.0, -v[82:83]
	v_add_nc_u32_e32 v158, 0x800, v156
	v_fma_f64 v[30:31], v[0:1], 2.0, -v[32:33]
	ds_write_b128 v104, v[124:127]
	v_fma_f64 v[0:1], v[58:59], 2.0, -v[2:3]
	v_add_f64 v[58:59], v[40:41], -v[112:113]
	v_fma_f64 v[20:21], v[56:57], 2.0, -v[22:23]
	v_add_nc_u32_e32 v159, 0x1000, v156
	v_add_nc_u32_e32 v137, 0x1400, v156
	;; [unrolled: 1-line block ×3, first 2 shown]
	v_fma_f64 v[4:5], v[16:17], 2.0, -v[6:7]
	v_add_nc_u32_e32 v161, 0x2000, v156
	v_fma_f64 v[16:17], v[116:117], 2.0, -v[18:19]
	v_add_nc_u32_e32 v138, 0x2400, v156
	s_mov_b32 s26, 0x2ef20147
	s_mov_b32 s34, 0x24c2f84
	v_fma_f64 v[60:61], v[110:111], 2.0, -v[62:63]
	s_mov_b32 s40, 0x4bc48dbf
	v_fma_f64 v[64:65], v[42:43], 2.0, -v[66:67]
	s_mov_b32 s5, 0xbfddbe06
	s_mov_b32 s13, 0xbfea55e2
	;; [unrolled: 1-line block ×4, first 2 shown]
	ds_write_b128 v105, v[30:33]
	ds_write_b128 v104, v[34:37] offset:1664
	ds_write_b128 v104, v[12:15] offset:2496
	;; [unrolled: 1-line block ×3, first 2 shown]
	v_fma_f64 v[56:57], v[40:41], 2.0, -v[58:59]
	v_add_f64 v[40:41], v[72:73], -v[68:69]
	v_fma_f64 v[68:69], v[74:75], 2.0, -v[70:71]
	v_add_f64 v[74:75], v[50:51], -v[106:107]
	v_fma_f64 v[106:107], v[48:49], 2.0, -v[108:109]
	v_add_nc_u32_e32 v4, 0x104, v190
	s_mov_b32 s35, 0xbfe5384d
	s_mov_b32 s41, 0xbfcea1e5
	;; [unrolled: 1-line block ×4, first 2 shown]
	v_lshl_add_u32 v110, v4, 4, 0
	v_add_nc_u32_e32 v4, 0x138, v190
	s_mov_b32 s24, 0xebaa3ed8
	s_mov_b32 s30, 0xb2365da1
	;; [unrolled: 1-line block ×3, first 2 shown]
	ds_write_b128 v110, v[8:11]
	v_lshl_add_u32 v111, v4, 4, 0
	s_mov_b32 s42, 0x93053d00
	s_mov_b32 s11, 0x3fec55a7
	;; [unrolled: 1-line block ×6, first 2 shown]
	v_fma_f64 v[38:39], v[72:73], 2.0, -v[40:41]
	s_mov_b32 s43, 0xbfef11f4
	v_fma_f64 v[72:73], v[50:51], 2.0, -v[74:75]
	v_add_f64 v[50:51], v[44:45], -v[76:77]
	v_fma_f64 v[76:77], v[46:47], 2.0, -v[78:79]
	s_mov_b32 s7, 0x3fddbe06
	s_mov_b32 s6, s4
	;; [unrolled: 1-line block ×12, first 2 shown]
	v_cmp_gt_u32_e64 s0, 26, v190
	v_fma_f64 v[48:49], v[44:45], 2.0, -v[50:51]
	ds_write_b128 v111, v[16:19]
	ds_write_b128 v104, v[20:23] offset:5824
	ds_write_b128 v104, v[24:27] offset:6656
	ds_write_b128 v104, v[56:59] offset:7488
	ds_write_b128 v104, v[38:41] offset:8320
	ds_write_b128 v104, v[106:109] offset:9152
	ds_write_b128 v104, v[48:51] offset:9984
	s_waitcnt lgkmcnt(0)
	s_barrier
	buffer_gl0_inv
	ds_read2_b64 v[4:7], v156 offset1:52
	ds_read2_b64 v[56:59], v156 offset0:104 offset1:156
	ds_read2_b64 v[48:51], v157 offset0:80 offset1:132
	;; [unrolled: 1-line block ×12, first 2 shown]
	s_waitcnt lgkmcnt(0)
	s_barrier
	buffer_gl0_inv
	ds_write_b128 v104, v[52:55]
	ds_write_b128 v105, v[88:91]
	ds_write_b128 v104, v[92:95] offset:1664
	ds_write_b128 v104, v[96:99] offset:2496
	;; [unrolled: 1-line block ×3, first 2 shown]
	ds_write_b128 v110, v[84:87]
	ds_write_b128 v111, v[80:83]
	ds_write_b128 v104, v[0:3] offset:5824
	ds_write_b128 v104, v[60:63] offset:6656
	;; [unrolled: 1-line block ×6, first 2 shown]
	v_mul_u32_u24_e32 v92, 12, v139
	s_waitcnt lgkmcnt(0)
	s_barrier
	buffer_gl0_inv
	ds_read2_b64 v[0:3], v156 offset1:52
	ds_read2_b64 v[98:101], v156 offset0:104 offset1:156
	ds_read2_b64 v[102:105], v157 offset0:80 offset1:132
	;; [unrolled: 1-line block ×12, first 2 shown]
	v_lshlrev_b32_e32 v106, 4, v92
	s_clause 0x7
	global_load_dwordx4 v[140:143], v106, s[8:9] offset:48
	global_load_dwordx4 v[144:147], v106, s[8:9] offset:32
	;; [unrolled: 1-line block ×3, first 2 shown]
	global_load_dwordx4 v[162:165], v106, s[8:9]
	global_load_dwordx4 v[172:175], v106, s[8:9] offset:112
	global_load_dwordx4 v[176:179], v106, s[8:9] offset:96
	;; [unrolled: 1-line block ×4, first 2 shown]
	s_waitcnt vmcnt(4) lgkmcnt(11)
	v_mul_f64 v[92:93], v[98:99], v[164:165]
	v_fma_f64 v[130:131], v[56:57], v[162:163], v[92:93]
	v_mul_f64 v[56:57], v[56:57], v[164:165]
	v_fma_f64 v[132:133], v[98:99], v[162:163], -v[56:57]
	s_waitcnt lgkmcnt(10)
	v_mul_f64 v[56:57], v[102:103], v[150:151]
	v_fma_f64 v[124:125], v[48:49], v[148:149], v[56:57]
	v_mul_f64 v[48:49], v[48:49], v[150:151]
	v_fma_f64 v[126:127], v[102:103], v[148:149], -v[48:49]
	s_waitcnt lgkmcnt(9)
	v_mul_f64 v[48:49], v[94:95], v[146:147]
	v_fma_f64 v[118:119], v[44:45], v[144:145], v[48:49]
	v_mul_f64 v[44:45], v[44:45], v[146:147]
	v_fma_f64 v[120:121], v[94:95], v[144:145], -v[44:45]
	s_clause 0x3
	global_load_dwordx4 v[92:95], v106, s[8:9] offset:176
	global_load_dwordx4 v[191:194], v106, s[8:9] offset:160
	;; [unrolled: 1-line block ×4, first 2 shown]
	s_waitcnt lgkmcnt(8)
	v_mul_f64 v[44:45], v[88:89], v[142:143]
	s_waitcnt vmcnt(0) lgkmcnt(0)
	s_barrier
	buffer_gl0_inv
	v_fma_f64 v[114:115], v[40:41], v[140:141], v[44:45]
	v_mul_f64 v[40:41], v[40:41], v[142:143]
	v_fma_f64 v[116:117], v[88:89], v[140:141], -v[40:41]
	v_mul_f64 v[40:41], v[84:85], v[186:187]
	v_fma_f64 v[110:111], v[36:37], v[184:185], v[40:41]
	v_mul_f64 v[36:37], v[36:37], v[186:187]
	v_fma_f64 v[112:113], v[84:85], v[184:185], -v[36:37]
	v_mul_f64 v[36:37], v[80:81], v[182:183]
	v_fma_f64 v[108:109], v[32:33], v[180:181], v[36:37]
	v_mul_f64 v[32:33], v[32:33], v[182:183]
	v_mul_f64 v[36:37], v[76:77], v[178:179]
	v_fma_f64 v[32:33], v[80:81], v[180:181], -v[32:33]
	v_fma_f64 v[80:81], v[28:29], v[176:177], v[36:37]
	v_mul_f64 v[28:29], v[28:29], v[178:179]
	v_mul_f64 v[36:37], v[72:73], v[174:175]
	v_fma_f64 v[28:29], v[76:77], v[176:177], -v[28:29]
	v_fma_f64 v[76:77], v[24:25], v[172:173], v[36:37]
	v_mul_f64 v[24:25], v[24:25], v[174:175]
	v_fma_f64 v[24:25], v[72:73], v[172:173], -v[24:25]
	v_mul_f64 v[36:37], v[68:69], v[201:202]
	v_fma_f64 v[72:73], v[20:21], v[199:200], v[36:37]
	v_mul_f64 v[20:21], v[20:21], v[201:202]
	v_mul_f64 v[36:37], v[64:65], v[197:198]
	v_fma_f64 v[20:21], v[68:69], v[199:200], -v[20:21]
	v_fma_f64 v[68:69], v[12:13], v[195:196], v[36:37]
	v_mul_f64 v[12:13], v[12:13], v[197:198]
	v_mul_f64 v[36:37], v[60:61], v[193:194]
	v_fma_f64 v[12:13], v[64:65], v[195:196], -v[12:13]
	v_fma_f64 v[64:65], v[8:9], v[191:192], v[36:37]
	v_mul_f64 v[8:9], v[8:9], v[193:194]
	v_fma_f64 v[60:61], v[60:61], v[191:192], -v[8:9]
	v_mul_f64 v[8:9], v[52:53], v[94:95]
	v_fma_f64 v[134:135], v[16:17], v[92:93], v[8:9]
	v_mul_f64 v[8:9], v[16:17], v[94:95]
	v_fma_f64 v[16:17], v[52:53], v[92:93], -v[8:9]
	v_mul_f64 v[8:9], v[100:101], v[164:165]
	;; [unrolled: 4-line block ×11, first 2 shown]
	v_fma_f64 v[90:91], v[14:15], v[195:196], v[8:9]
	v_mul_f64 v[8:9], v[14:15], v[197:198]
	v_add_f64 v[14:15], v[132:133], v[16:17]
	v_fma_f64 v[96:97], v[66:67], v[195:196], -v[8:9]
	v_mul_f64 v[8:9], v[62:63], v[193:194]
	v_mul_f64 v[30:31], v[14:15], s[10:11]
	;; [unrolled: 1-line block ×5, first 2 shown]
	v_fma_f64 v[102:103], v[10:11], v[191:192], v[8:9]
	v_mul_f64 v[8:9], v[10:11], v[193:194]
	v_add_f64 v[10:11], v[0:1], v[132:133]
	v_fma_f64 v[104:105], v[62:63], v[191:192], -v[8:9]
	v_mul_f64 v[8:9], v[54:55], v[94:95]
	v_add_f64 v[10:11], v[10:11], v[126:127]
	v_subrev_nc_u32_e32 v191, 26, v190
	v_fma_f64 v[128:129], v[18:19], v[92:93], v[8:9]
	v_mul_f64 v[8:9], v[18:19], v[94:95]
	v_add_f64 v[10:11], v[10:11], v[120:121]
	v_add_f64 v[18:19], v[130:131], -v[134:135]
	v_mul_f64 v[94:95], v[14:15], s[24:25]
	v_mul_f64 v[14:15], v[14:15], s[42:43]
	v_fma_f64 v[54:55], v[54:55], v[92:93], -v[8:9]
	v_add_f64 v[8:9], v[4:5], v[130:131]
	v_add_f64 v[10:11], v[10:11], v[116:117]
	v_fma_f64 v[58:59], v[18:19], s[6:7], v[30:31]
	v_fma_f64 v[30:31], v[18:19], s[4:5], v[30:31]
	;; [unrolled: 1-line block ×9, first 2 shown]
	v_add_f64 v[8:9], v[8:9], v[124:125]
	v_add_f64 v[10:11], v[10:11], v[112:113]
	;; [unrolled: 1-line block ×25, first 2 shown]
	v_add_f64 v[16:17], v[132:133], -v[16:17]
	v_add_f64 v[10:11], v[130:131], v[134:135]
	v_fma_f64 v[130:131], v[18:19], s[22:23], v[94:95]
	v_fma_f64 v[94:95], v[18:19], s[20:21], v[94:95]
	v_add_f64 v[8:9], v[8:9], v[68:69]
	v_mul_f64 v[22:23], v[16:17], s[4:5]
	v_mul_f64 v[62:63], v[16:17], s[12:13]
	;; [unrolled: 1-line block ×6, first 2 shown]
	v_add_f64 v[130:131], v[0:1], v[130:131]
	v_add_f64 v[94:95], v[0:1], v[94:95]
	v_add_f64 v[8:9], v[8:9], v[64:65]
	v_fma_f64 v[26:27], v[10:11], s[10:11], v[22:23]
	v_fma_f64 v[22:23], v[10:11], s[10:11], -v[22:23]
	v_fma_f64 v[66:67], v[10:11], s[18:19], v[62:63]
	v_fma_f64 v[62:63], v[10:11], s[18:19], -v[62:63]
	;; [unrolled: 2-line block ×4, first 2 shown]
	v_fma_f64 v[152:153], v[10:11], s[42:43], v[16:17]
	v_add_f64 v[8:9], v[8:9], v[134:135]
	v_fma_f64 v[134:135], v[10:11], s[30:31], v[132:133]
	v_fma_f64 v[132:133], v[10:11], s[30:31], -v[132:133]
	v_fma_f64 v[10:11], v[10:11], s[42:43], -v[16:17]
	v_add_f64 v[26:27], v[4:5], v[26:27]
	v_add_f64 v[22:23], v[4:5], v[22:23]
	v_add_f64 v[66:67], v[4:5], v[66:67]
	v_add_f64 v[62:63], v[4:5], v[62:63]
	v_add_f64 v[92:93], v[4:5], v[92:93]
	v_add_f64 v[78:79], v[4:5], v[78:79]
	v_add_f64 v[146:147], v[4:5], v[146:147]
	v_add_f64 v[144:145], v[4:5], v[144:145]
	v_add_f64 v[152:153], v[4:5], v[152:153]
	v_add_f64 v[16:17], v[124:125], -v[64:65]
	v_add_f64 v[134:135], v[4:5], v[134:135]
	v_add_f64 v[132:133], v[4:5], v[132:133]
	v_add_f64 v[4:5], v[4:5], v[10:11]
	v_fma_f64 v[10:11], v[18:19], s[40:41], v[14:15]
	v_add_f64 v[18:19], v[126:127], -v[60:61]
	v_add_f64 v[14:15], v[126:127], v[60:61]
	v_add_f64 v[0:1], v[0:1], v[10:11]
	;; [unrolled: 1-line block ×3, first 2 shown]
	v_mul_f64 v[60:61], v[18:19], s[12:13]
	v_mul_f64 v[126:127], v[14:15], s[38:39]
	v_fma_f64 v[64:65], v[10:11], s[18:19], v[60:61]
	v_fma_f64 v[60:61], v[10:11], s[18:19], -v[60:61]
	v_add_f64 v[26:27], v[64:65], v[26:27]
	v_mul_f64 v[64:65], v[14:15], s[18:19]
	v_add_f64 v[22:23], v[60:61], v[22:23]
	v_fma_f64 v[60:61], v[16:17], s[12:13], v[64:65]
	v_fma_f64 v[124:125], v[16:17], s[16:17], v[64:65]
	v_add_f64 v[30:31], v[60:61], v[30:31]
	v_mul_f64 v[60:61], v[18:19], s[26:27]
	v_add_f64 v[58:59], v[124:125], v[58:59]
	v_fma_f64 v[64:65], v[10:11], s[30:31], v[60:61]
	v_fma_f64 v[60:61], v[10:11], s[30:31], -v[60:61]
	v_add_f64 v[64:65], v[64:65], v[66:67]
	v_mul_f64 v[66:67], v[14:15], s[30:31]
	v_add_f64 v[60:61], v[60:61], v[62:63]
	v_fma_f64 v[124:125], v[16:17], s[28:29], v[66:67]
	v_fma_f64 v[62:63], v[16:17], s[26:27], v[66:67]
	v_mul_f64 v[66:67], v[18:19], s[40:41]
	v_add_f64 v[74:75], v[124:125], v[74:75]
	v_add_f64 v[62:63], v[62:63], v[70:71]
	v_fma_f64 v[70:71], v[10:11], s[42:43], v[66:67]
	v_fma_f64 v[66:67], v[10:11], s[42:43], -v[66:67]
	v_add_f64 v[70:71], v[70:71], v[92:93]
	v_mul_f64 v[92:93], v[14:15], s[42:43]
	v_add_f64 v[66:67], v[66:67], v[78:79]
	v_fma_f64 v[124:125], v[16:17], s[44:45], v[92:93]
	v_fma_f64 v[78:79], v[16:17], s[40:41], v[92:93]
	v_mul_f64 v[92:93], v[18:19], s[36:37]
	v_add_f64 v[124:125], v[124:125], v[130:131]
	v_add_f64 v[78:79], v[78:79], v[94:95]
	v_fma_f64 v[94:95], v[10:11], s[38:39], v[92:93]
	v_fma_f64 v[92:93], v[10:11], s[38:39], -v[92:93]
	v_fma_f64 v[130:131], v[16:17], s[34:35], v[126:127]
	v_fma_f64 v[126:127], v[16:17], s[36:37], v[126:127]
	v_add_f64 v[94:95], v[94:95], v[134:135]
	v_add_f64 v[92:93], v[92:93], v[132:133]
	v_mul_f64 v[132:133], v[18:19], s[22:23]
	v_mul_f64 v[18:19], v[18:19], s[6:7]
	v_add_f64 v[126:127], v[126:127], v[140:141]
	v_mul_f64 v[140:141], v[14:15], s[24:25]
	v_mul_f64 v[14:15], v[14:15], s[10:11]
	v_add_f64 v[130:131], v[130:131], v[142:143]
	v_fma_f64 v[134:135], v[10:11], s[24:25], v[132:133]
	v_fma_f64 v[132:133], v[10:11], s[24:25], -v[132:133]
	v_fma_f64 v[142:143], v[16:17], s[20:21], v[140:141]
	v_fma_f64 v[140:141], v[16:17], s[22:23], v[140:141]
	v_add_f64 v[134:135], v[134:135], v[146:147]
	v_add_f64 v[132:133], v[132:133], v[144:145]
	v_fma_f64 v[144:145], v[10:11], s[10:11], v[18:19]
	v_fma_f64 v[10:11], v[10:11], s[10:11], -v[18:19]
	v_fma_f64 v[146:147], v[16:17], s[4:5], v[14:15]
	v_add_f64 v[142:143], v[142:143], v[150:151]
	v_add_f64 v[140:141], v[140:141], v[148:149]
	;; [unrolled: 1-line block ×4, first 2 shown]
	v_fma_f64 v[10:11], v[16:17], s[6:7], v[14:15]
	v_add_f64 v[14:15], v[120:121], v[12:13]
	v_add_f64 v[12:13], v[120:121], -v[12:13]
	v_add_f64 v[16:17], v[118:119], -v[68:69]
	v_add_f64 v[146:147], v[146:147], v[162:163]
	v_add_f64 v[0:1], v[10:11], v[0:1]
	;; [unrolled: 1-line block ×3, first 2 shown]
	v_mul_f64 v[18:19], v[12:13], s[20:21]
	v_fma_f64 v[68:69], v[10:11], s[24:25], v[18:19]
	v_fma_f64 v[18:19], v[10:11], s[24:25], -v[18:19]
	v_add_f64 v[26:27], v[68:69], v[26:27]
	v_mul_f64 v[68:69], v[14:15], s[24:25]
	v_add_f64 v[18:19], v[18:19], v[22:23]
	v_fma_f64 v[22:23], v[16:17], s[20:21], v[68:69]
	v_fma_f64 v[118:119], v[16:17], s[22:23], v[68:69]
	v_add_f64 v[22:23], v[22:23], v[30:31]
	v_mul_f64 v[30:31], v[12:13], s[40:41]
	v_add_f64 v[58:59], v[118:119], v[58:59]
	v_fma_f64 v[68:69], v[10:11], s[42:43], v[30:31]
	v_fma_f64 v[30:31], v[10:11], s[42:43], -v[30:31]
	v_add_f64 v[64:65], v[68:69], v[64:65]
	v_mul_f64 v[68:69], v[14:15], s[42:43]
	v_add_f64 v[30:31], v[30:31], v[60:61]
	v_fma_f64 v[60:61], v[16:17], s[40:41], v[68:69]
	v_fma_f64 v[118:119], v[16:17], s[44:45], v[68:69]
	v_add_f64 v[60:61], v[60:61], v[62:63]
	v_mul_f64 v[62:63], v[12:13], s[28:29]
	v_add_f64 v[74:75], v[118:119], v[74:75]
	v_fma_f64 v[68:69], v[10:11], s[30:31], v[62:63]
	v_fma_f64 v[62:63], v[10:11], s[30:31], -v[62:63]
	v_add_f64 v[68:69], v[68:69], v[70:71]
	v_mul_f64 v[70:71], v[14:15], s[30:31]
	v_add_f64 v[62:63], v[62:63], v[66:67]
	v_fma_f64 v[118:119], v[16:17], s[26:27], v[70:71]
	v_fma_f64 v[66:67], v[16:17], s[28:29], v[70:71]
	v_mul_f64 v[70:71], v[12:13], s[6:7]
	v_add_f64 v[118:119], v[118:119], v[124:125]
	v_add_f64 v[66:67], v[66:67], v[78:79]
	v_fma_f64 v[78:79], v[10:11], s[10:11], v[70:71]
	v_fma_f64 v[70:71], v[10:11], s[10:11], -v[70:71]
	v_add_f64 v[78:79], v[78:79], v[94:95]
	v_mul_f64 v[94:95], v[14:15], s[10:11]
	v_add_f64 v[70:71], v[70:71], v[92:93]
	v_fma_f64 v[120:121], v[16:17], s[4:5], v[94:95]
	v_fma_f64 v[92:93], v[16:17], s[6:7], v[94:95]
	v_mul_f64 v[94:95], v[12:13], s[12:13]
	v_mul_f64 v[12:13], v[12:13], s[34:35]
	v_add_f64 v[120:121], v[120:121], v[130:131]
	v_add_f64 v[92:93], v[92:93], v[126:127]
	v_fma_f64 v[124:125], v[10:11], s[18:19], v[94:95]
	v_fma_f64 v[94:95], v[10:11], s[18:19], -v[94:95]
	v_mul_f64 v[126:127], v[14:15], s[18:19]
	v_mul_f64 v[14:15], v[14:15], s[38:39]
	v_add_f64 v[124:125], v[124:125], v[134:135]
	v_add_f64 v[94:95], v[94:95], v[132:133]
	v_fma_f64 v[132:133], v[10:11], s[38:39], v[12:13]
	v_fma_f64 v[10:11], v[10:11], s[38:39], -v[12:13]
	v_fma_f64 v[130:131], v[16:17], s[16:17], v[126:127]
	v_fma_f64 v[126:127], v[16:17], s[12:13], v[126:127]
	;; [unrolled: 1-line block ×3, first 2 shown]
	v_add_f64 v[12:13], v[116:117], v[20:21]
	v_add_f64 v[132:133], v[132:133], v[144:145]
	;; [unrolled: 1-line block ×3, first 2 shown]
	v_fma_f64 v[10:11], v[16:17], s[34:35], v[14:15]
	v_add_f64 v[16:17], v[116:117], -v[20:21]
	v_add_f64 v[14:15], v[114:115], -v[72:73]
	v_add_f64 v[130:131], v[130:131], v[142:143]
	v_add_f64 v[126:127], v[126:127], v[140:141]
	;; [unrolled: 1-line block ×5, first 2 shown]
	v_mul_f64 v[20:21], v[16:17], s[26:27]
	v_fma_f64 v[72:73], v[10:11], s[30:31], v[20:21]
	v_fma_f64 v[20:21], v[10:11], s[30:31], -v[20:21]
	v_add_f64 v[26:27], v[72:73], v[26:27]
	v_mul_f64 v[72:73], v[12:13], s[30:31]
	v_add_f64 v[18:19], v[20:21], v[18:19]
	v_fma_f64 v[20:21], v[14:15], s[26:27], v[72:73]
	v_fma_f64 v[114:115], v[14:15], s[28:29], v[72:73]
	v_add_f64 v[20:21], v[20:21], v[22:23]
	v_mul_f64 v[22:23], v[16:17], s[36:37]
	v_add_f64 v[58:59], v[114:115], v[58:59]
	v_fma_f64 v[72:73], v[10:11], s[38:39], v[22:23]
	v_fma_f64 v[22:23], v[10:11], s[38:39], -v[22:23]
	v_add_f64 v[64:65], v[72:73], v[64:65]
	v_mul_f64 v[72:73], v[12:13], s[38:39]
	v_add_f64 v[22:23], v[22:23], v[30:31]
	v_fma_f64 v[30:31], v[14:15], s[36:37], v[72:73]
	v_fma_f64 v[114:115], v[14:15], s[34:35], v[72:73]
	v_add_f64 v[30:31], v[30:31], v[60:61]
	v_mul_f64 v[60:61], v[16:17], s[6:7]
	v_add_f64 v[74:75], v[114:115], v[74:75]
	;; [unrolled: 10-line block ×3, first 2 shown]
	v_mul_f64 v[118:119], v[12:13], s[42:43]
	v_fma_f64 v[72:73], v[10:11], s[24:25], v[66:67]
	v_fma_f64 v[66:67], v[10:11], s[24:25], -v[66:67]
	v_add_f64 v[72:73], v[72:73], v[78:79]
	v_mul_f64 v[78:79], v[12:13], s[24:25]
	v_add_f64 v[66:67], v[66:67], v[70:71]
	v_mul_f64 v[12:13], v[12:13], s[18:19]
	v_fma_f64 v[116:117], v[14:15], s[22:23], v[78:79]
	v_fma_f64 v[70:71], v[14:15], s[20:21], v[78:79]
	v_mul_f64 v[78:79], v[16:17], s[44:45]
	v_mul_f64 v[16:17], v[16:17], s[16:17]
	v_add_f64 v[116:117], v[116:117], v[120:121]
	v_add_f64 v[70:71], v[70:71], v[92:93]
	v_fma_f64 v[92:93], v[10:11], s[42:43], v[78:79]
	v_fma_f64 v[78:79], v[10:11], s[42:43], -v[78:79]
	v_fma_f64 v[120:121], v[14:15], s[40:41], v[118:119]
	v_add_f64 v[92:93], v[92:93], v[124:125]
	v_add_f64 v[78:79], v[78:79], v[94:95]
	v_fma_f64 v[94:95], v[14:15], s[44:45], v[118:119]
	v_fma_f64 v[118:119], v[10:11], s[18:19], v[16:17]
	v_fma_f64 v[10:11], v[10:11], s[18:19], -v[16:17]
	v_add_f64 v[16:17], v[112:113], -v[24:25]
	v_fma_f64 v[124:125], v[14:15], s[12:13], v[12:13]
	v_add_f64 v[120:121], v[120:121], v[130:131]
	v_add_f64 v[130:131], v[108:109], v[80:81]
	v_add_f64 v[108:109], v[108:109], -v[80:81]
	v_add_f64 v[94:95], v[94:95], v[126:127]
	v_add_f64 v[118:119], v[118:119], v[132:133]
	;; [unrolled: 1-line block ×3, first 2 shown]
	v_fma_f64 v[10:11], v[14:15], s[16:17], v[12:13]
	v_add_f64 v[12:13], v[112:113], v[24:25]
	v_mul_f64 v[24:25], v[16:17], s[34:35]
	v_add_f64 v[14:15], v[110:111], -v[76:77]
	v_add_f64 v[124:125], v[124:125], v[134:135]
	v_add_f64 v[134:135], v[32:33], -v[28:29]
	v_add_f64 v[132:133], v[32:33], v[28:29]
	v_add_f64 v[0:1], v[10:11], v[0:1]
	;; [unrolled: 1-line block ×3, first 2 shown]
	v_fma_f64 v[76:77], v[10:11], s[38:39], v[24:25]
	v_fma_f64 v[24:25], v[10:11], s[38:39], -v[24:25]
	v_add_f64 v[26:27], v[76:77], v[26:27]
	v_mul_f64 v[76:77], v[12:13], s[38:39]
	v_add_f64 v[18:19], v[24:25], v[18:19]
	v_fma_f64 v[24:25], v[14:15], s[34:35], v[76:77]
	v_fma_f64 v[110:111], v[14:15], s[36:37], v[76:77]
	v_add_f64 v[20:21], v[24:25], v[20:21]
	v_mul_f64 v[24:25], v[16:17], s[22:23]
	v_add_f64 v[58:59], v[110:111], v[58:59]
	v_fma_f64 v[76:77], v[10:11], s[24:25], v[24:25]
	v_fma_f64 v[24:25], v[10:11], s[24:25], -v[24:25]
	v_add_f64 v[64:65], v[76:77], v[64:65]
	v_mul_f64 v[76:77], v[12:13], s[24:25]
	v_add_f64 v[22:23], v[24:25], v[22:23]
	v_fma_f64 v[24:25], v[14:15], s[22:23], v[76:77]
	v_fma_f64 v[110:111], v[14:15], s[20:21], v[76:77]
	v_add_f64 v[24:25], v[24:25], v[30:31]
	v_mul_f64 v[30:31], v[16:17], s[12:13]
	v_add_f64 v[74:75], v[110:111], v[74:75]
	;; [unrolled: 10-line block ×4, first 2 shown]
	v_mul_f64 v[16:17], v[16:17], s[26:27]
	v_fma_f64 v[60:61], v[10:11], s[10:11], v[30:31]
	v_fma_f64 v[30:31], v[10:11], s[10:11], -v[30:31]
	v_add_f64 v[92:93], v[60:61], v[92:93]
	v_mul_f64 v[60:61], v[12:13], s[10:11]
	v_mul_f64 v[12:13], v[12:13], s[30:31]
	v_fma_f64 v[76:77], v[14:15], s[4:5], v[60:61]
	v_add_f64 v[116:117], v[76:77], v[120:121]
	v_add_f64 v[120:121], v[30:31], v[78:79]
	v_fma_f64 v[30:31], v[14:15], s[6:7], v[60:61]
	v_add_f64 v[94:95], v[30:31], v[94:95]
	v_fma_f64 v[30:31], v[10:11], s[30:31], v[16:17]
	v_fma_f64 v[10:11], v[10:11], s[30:31], -v[16:17]
	v_add_f64 v[118:119], v[30:31], v[118:119]
	v_add_f64 v[10:11], v[10:11], v[4:5]
	v_fma_f64 v[4:5], v[14:15], s[26:27], v[12:13]
	v_fma_f64 v[30:31], v[14:15], s[28:29], v[12:13]
	v_mul_f64 v[12:13], v[132:133], s[42:43]
	v_add_f64 v[126:127], v[4:5], v[0:1]
	v_mul_f64 v[0:1], v[134:135], s[40:41]
	v_add_f64 v[124:125], v[30:31], v[124:125]
	v_fma_f64 v[4:5], v[130:131], s[42:43], v[0:1]
	v_fma_f64 v[0:1], v[130:131], s[42:43], -v[0:1]
	v_add_f64 v[30:31], v[4:5], v[26:27]
	v_fma_f64 v[4:5], v[108:109], s[44:45], v[12:13]
	v_add_f64 v[80:81], v[4:5], v[58:59]
	v_add_f64 v[4:5], v[0:1], v[18:19]
	v_fma_f64 v[0:1], v[108:109], s[40:41], v[12:13]
	v_mul_f64 v[12:13], v[134:135], s[6:7]
	v_mul_f64 v[58:59], v[132:133], s[24:25]
	v_add_f64 v[0:1], v[0:1], v[20:21]
	v_fma_f64 v[14:15], v[130:131], s[10:11], v[12:13]
	v_fma_f64 v[12:13], v[130:131], s[10:11], -v[12:13]
	v_add_f64 v[28:29], v[14:15], v[64:65]
	v_mul_f64 v[14:15], v[132:133], s[10:11]
	v_add_f64 v[12:13], v[12:13], v[22:23]
	v_fma_f64 v[16:17], v[108:109], s[4:5], v[14:15]
	v_fma_f64 v[14:15], v[108:109], s[6:7], v[14:15]
	v_add_f64 v[76:77], v[16:17], v[74:75]
	v_add_f64 v[60:61], v[14:15], v[24:25]
	v_mul_f64 v[14:15], v[134:135], s[34:35]
	v_fma_f64 v[16:17], v[130:131], s[38:39], v[14:15]
	v_fma_f64 v[14:15], v[130:131], s[38:39], -v[14:15]
	v_add_f64 v[32:33], v[16:17], v[68:69]
	v_mul_f64 v[16:17], v[132:133], s[38:39]
	v_fma_f64 v[68:69], v[108:109], s[20:21], v[58:59]
	v_add_f64 v[14:15], v[14:15], v[112:113]
	v_fma_f64 v[18:19], v[108:109], s[36:37], v[16:17]
	v_fma_f64 v[16:17], v[108:109], s[34:35], v[16:17]
	v_add_f64 v[68:69], v[68:69], v[124:125]
	v_add_f64 v[78:79], v[18:19], v[110:111]
	;; [unrolled: 1-line block ×3, first 2 shown]
	v_mul_f64 v[16:17], v[134:135], s[16:17]
	v_fma_f64 v[18:19], v[130:131], s[18:19], v[16:17]
	v_fma_f64 v[16:17], v[130:131], s[18:19], -v[16:17]
	v_add_f64 v[24:25], v[18:19], v[72:73]
	v_mul_f64 v[18:19], v[132:133], s[18:19]
	v_add_f64 v[16:17], v[16:17], v[66:67]
	v_fma_f64 v[20:21], v[108:109], s[12:13], v[18:19]
	v_fma_f64 v[18:19], v[108:109], s[16:17], v[18:19]
	v_add_f64 v[72:73], v[20:21], v[114:115]
	v_add_f64 v[64:65], v[18:19], v[70:71]
	v_mul_f64 v[18:19], v[134:135], s[26:27]
	v_fma_f64 v[20:21], v[130:131], s[30:31], v[18:19]
	v_fma_f64 v[18:19], v[130:131], s[30:31], -v[18:19]
	v_add_f64 v[26:27], v[20:21], v[92:93]
	v_mul_f64 v[20:21], v[132:133], s[30:31]
	v_add_f64 v[92:93], v[122:123], -v[128:129]
	v_add_f64 v[18:19], v[18:19], v[120:121]
	v_fma_f64 v[22:23], v[108:109], s[28:29], v[20:21]
	v_fma_f64 v[20:21], v[108:109], s[26:27], v[20:21]
	v_add_f64 v[74:75], v[22:23], v[116:117]
	v_mul_f64 v[22:23], v[134:135], s[22:23]
	v_add_f64 v[66:67], v[20:21], v[94:95]
	v_add_f64 v[94:95], v[122:123], v[128:129]
	v_fma_f64 v[20:21], v[130:131], s[24:25], v[22:23]
	v_fma_f64 v[22:23], v[130:131], s[24:25], -v[22:23]
	v_add_f64 v[20:21], v[20:21], v[118:119]
	v_add_f64 v[22:23], v[22:23], v[10:11]
	v_fma_f64 v[10:11], v[108:109], s[22:23], v[58:59]
	v_add_f64 v[58:59], v[2:3], v[106:107]
	v_add_f64 v[108:109], v[106:107], v[54:55]
	;; [unrolled: 1-line block ×5, first 2 shown]
	v_add_f64 v[122:123], v[106:107], -v[54:55]
	v_mul_f64 v[112:113], v[108:109], s[10:11]
	v_mul_f64 v[120:121], v[108:109], s[18:19]
	;; [unrolled: 1-line block ×4, first 2 shown]
	v_add_f64 v[10:11], v[10:11], v[98:99]
	v_add_f64 v[58:59], v[58:59], v[88:89]
	v_mul_f64 v[110:111], v[122:123], s[4:5]
	v_mul_f64 v[118:119], v[122:123], s[12:13]
	;; [unrolled: 1-line block ×6, first 2 shown]
	v_fma_f64 v[106:107], v[92:93], s[6:7], v[112:113]
	v_fma_f64 v[112:113], v[92:93], s[4:5], v[112:113]
	;; [unrolled: 1-line block ×8, first 2 shown]
	v_add_f64 v[10:11], v[10:11], v[84:85]
	v_add_f64 v[58:59], v[58:59], v[48:49]
	v_fma_f64 v[114:115], v[94:95], s[18:19], v[118:119]
	v_fma_f64 v[118:119], v[94:95], s[18:19], -v[118:119]
	v_fma_f64 v[126:127], v[94:95], s[24:25], v[124:125]
	v_fma_f64 v[124:125], v[94:95], s[24:25], -v[124:125]
	;; [unrolled: 2-line block ×4, first 2 shown]
	v_fma_f64 v[152:153], v[94:95], s[42:43], v[122:123]
	v_add_f64 v[106:107], v[2:3], v[106:107]
	v_add_f64 v[112:113], v[2:3], v[112:113]
	;; [unrolled: 1-line block ×33, first 2 shown]
	v_fma_f64 v[54:55], v[94:95], s[10:11], v[110:111]
	v_fma_f64 v[110:111], v[94:95], s[10:11], -v[110:111]
	v_fma_f64 v[94:95], v[94:95], s[42:43], -v[122:123]
	v_add_f64 v[10:11], v[10:11], v[128:129]
	v_mul_f64 v[128:129], v[108:109], s[24:25]
	v_mul_f64 v[108:109], v[108:109], s[42:43]
	v_add_f64 v[54:55], v[6:7], v[54:55]
	v_add_f64 v[110:111], v[6:7], v[110:111]
	;; [unrolled: 1-line block ×4, first 2 shown]
	v_add_f64 v[100:101], v[100:101], -v[104:105]
	v_fma_f64 v[130:131], v[92:93], s[22:23], v[128:129]
	v_fma_f64 v[128:129], v[92:93], s[20:21], v[128:129]
	;; [unrolled: 1-line block ×4, first 2 shown]
	v_add_f64 v[130:131], v[2:3], v[130:131]
	v_add_f64 v[128:129], v[2:3], v[128:129]
	;; [unrolled: 1-line block ×5, first 2 shown]
	v_add_f64 v[98:99], v[98:99], -v[102:103]
	v_mul_f64 v[102:103], v[100:101], s[12:13]
	v_fma_f64 v[104:105], v[92:93], s[18:19], v[102:103]
	v_fma_f64 v[102:103], v[92:93], s[18:19], -v[102:103]
	v_add_f64 v[54:55], v[104:105], v[54:55]
	v_mul_f64 v[104:105], v[94:95], s[18:19]
	v_add_f64 v[102:103], v[102:103], v[110:111]
	v_fma_f64 v[108:109], v[98:99], s[16:17], v[104:105]
	v_fma_f64 v[104:105], v[98:99], s[12:13], v[104:105]
	v_add_f64 v[106:107], v[108:109], v[106:107]
	v_mul_f64 v[108:109], v[100:101], s[26:27]
	v_add_f64 v[104:105], v[104:105], v[112:113]
	v_mul_f64 v[112:113], v[94:95], s[30:31]
	v_fma_f64 v[110:111], v[92:93], s[30:31], v[108:109]
	v_fma_f64 v[108:109], v[92:93], s[30:31], -v[108:109]
	v_add_f64 v[110:111], v[110:111], v[114:115]
	v_fma_f64 v[114:115], v[98:99], s[28:29], v[112:113]
	v_add_f64 v[108:109], v[108:109], v[118:119]
	v_fma_f64 v[112:113], v[98:99], s[26:27], v[112:113]
	v_add_f64 v[114:115], v[114:115], v[116:117]
	v_mul_f64 v[116:117], v[100:101], s[40:41]
	v_add_f64 v[112:113], v[112:113], v[120:121]
	v_mul_f64 v[120:121], v[94:95], s[42:43]
	v_fma_f64 v[118:119], v[92:93], s[42:43], v[116:117]
	v_fma_f64 v[116:117], v[92:93], s[42:43], -v[116:117]
	v_fma_f64 v[122:123], v[98:99], s[44:45], v[120:121]
	v_fma_f64 v[120:121], v[98:99], s[40:41], v[120:121]
	v_add_f64 v[118:119], v[118:119], v[126:127]
	v_add_f64 v[116:117], v[116:117], v[124:125]
	v_mul_f64 v[124:125], v[100:101], s[36:37]
	v_add_f64 v[120:121], v[120:121], v[128:129]
	v_mul_f64 v[128:129], v[94:95], s[38:39]
	v_add_f64 v[122:123], v[122:123], v[130:131]
	v_fma_f64 v[126:127], v[92:93], s[38:39], v[124:125]
	v_fma_f64 v[124:125], v[92:93], s[38:39], -v[124:125]
	v_fma_f64 v[130:131], v[98:99], s[34:35], v[128:129]
	v_fma_f64 v[128:129], v[98:99], s[36:37], v[128:129]
	v_add_f64 v[126:127], v[126:127], v[134:135]
	v_add_f64 v[124:125], v[124:125], v[132:133]
	v_mul_f64 v[132:133], v[100:101], s[22:23]
	v_mul_f64 v[100:101], v[100:101], s[6:7]
	v_add_f64 v[128:129], v[128:129], v[140:141]
	v_mul_f64 v[140:141], v[94:95], s[24:25]
	v_mul_f64 v[94:95], v[94:95], s[10:11]
	v_add_f64 v[130:131], v[130:131], v[142:143]
	v_fma_f64 v[134:135], v[92:93], s[24:25], v[132:133]
	v_fma_f64 v[132:133], v[92:93], s[24:25], -v[132:133]
	v_fma_f64 v[142:143], v[98:99], s[20:21], v[140:141]
	v_fma_f64 v[140:141], v[98:99], s[22:23], v[140:141]
	v_add_f64 v[134:135], v[134:135], v[146:147]
	v_add_f64 v[132:133], v[132:133], v[144:145]
	v_fma_f64 v[144:145], v[92:93], s[10:11], v[100:101]
	v_fma_f64 v[92:93], v[92:93], s[10:11], -v[100:101]
	v_fma_f64 v[146:147], v[98:99], s[4:5], v[94:95]
	v_add_f64 v[140:141], v[140:141], v[148:149]
	v_add_f64 v[142:143], v[142:143], v[150:151]
	v_cndmask_b32_e64 v150, v191, v190, s0
	v_add_f64 v[144:145], v[144:145], v[152:153]
	v_add_f64 v[6:7], v[92:93], v[6:7]
	v_fma_f64 v[92:93], v[98:99], s[6:7], v[94:95]
	v_add_f64 v[94:95], v[88:89], v[96:97]
	v_add_f64 v[88:89], v[88:89], -v[96:97]
	v_add_f64 v[146:147], v[146:147], v[162:163]
	v_add_f64 v[2:3], v[92:93], v[2:3]
	;; [unrolled: 1-line block ×3, first 2 shown]
	v_add_f64 v[84:85], v[84:85], -v[90:91]
	v_mul_f64 v[90:91], v[88:89], s[20:21]
	v_mul_f64 v[100:101], v[88:89], s[40:41]
	v_fma_f64 v[96:97], v[92:93], s[24:25], v[90:91]
	v_fma_f64 v[90:91], v[92:93], s[24:25], -v[90:91]
	v_add_f64 v[54:55], v[96:97], v[54:55]
	v_mul_f64 v[96:97], v[94:95], s[24:25]
	v_add_f64 v[90:91], v[90:91], v[102:103]
	v_fma_f64 v[102:103], v[92:93], s[42:43], v[100:101]
	v_fma_f64 v[100:101], v[92:93], s[42:43], -v[100:101]
	v_fma_f64 v[98:99], v[84:85], s[22:23], v[96:97]
	v_fma_f64 v[96:97], v[84:85], s[20:21], v[96:97]
	v_add_f64 v[102:103], v[102:103], v[110:111]
	v_add_f64 v[100:101], v[100:101], v[108:109]
	v_mul_f64 v[108:109], v[88:89], s[28:29]
	v_add_f64 v[98:99], v[98:99], v[106:107]
	v_add_f64 v[96:97], v[96:97], v[104:105]
	v_mul_f64 v[104:105], v[94:95], s[42:43]
	v_fma_f64 v[110:111], v[92:93], s[30:31], v[108:109]
	v_fma_f64 v[108:109], v[92:93], s[30:31], -v[108:109]
	v_fma_f64 v[106:107], v[84:85], s[44:45], v[104:105]
	v_fma_f64 v[104:105], v[84:85], s[40:41], v[104:105]
	v_add_f64 v[110:111], v[110:111], v[118:119]
	v_add_f64 v[108:109], v[108:109], v[116:117]
	v_mul_f64 v[116:117], v[88:89], s[6:7]
	v_add_f64 v[106:107], v[106:107], v[114:115]
	v_add_f64 v[104:105], v[104:105], v[112:113]
	v_mul_f64 v[112:113], v[94:95], s[30:31]
	v_fma_f64 v[118:119], v[92:93], s[10:11], v[116:117]
	v_fma_f64 v[116:117], v[92:93], s[10:11], -v[116:117]
	v_fma_f64 v[114:115], v[84:85], s[26:27], v[112:113]
	v_fma_f64 v[112:113], v[84:85], s[28:29], v[112:113]
	v_add_f64 v[118:119], v[118:119], v[126:127]
	v_add_f64 v[116:117], v[116:117], v[124:125]
	v_mul_f64 v[124:125], v[88:89], s[12:13]
	v_mul_f64 v[88:89], v[88:89], s[34:35]
	v_add_f64 v[114:115], v[114:115], v[122:123]
	v_add_f64 v[112:113], v[112:113], v[120:121]
	v_mul_f64 v[120:121], v[94:95], s[10:11]
	v_fma_f64 v[126:127], v[92:93], s[18:19], v[124:125]
	v_fma_f64 v[124:125], v[92:93], s[18:19], -v[124:125]
	v_fma_f64 v[122:123], v[84:85], s[4:5], v[120:121]
	v_fma_f64 v[120:121], v[84:85], s[6:7], v[120:121]
	v_add_f64 v[126:127], v[126:127], v[134:135]
	v_add_f64 v[124:125], v[124:125], v[132:133]
	v_fma_f64 v[132:133], v[92:93], s[38:39], v[88:89]
	v_fma_f64 v[88:89], v[92:93], s[38:39], -v[88:89]
	v_add_f64 v[122:123], v[122:123], v[130:131]
	v_add_f64 v[120:121], v[120:121], v[128:129]
	v_mul_f64 v[128:129], v[94:95], s[18:19]
	v_mul_f64 v[94:95], v[94:95], s[38:39]
	v_add_f64 v[132:133], v[132:133], v[144:145]
	v_add_f64 v[6:7], v[88:89], v[6:7]
	v_add_f64 v[88:89], v[48:49], v[86:87]
	v_add_f64 v[48:49], v[48:49], -v[86:87]
	v_fma_f64 v[130:131], v[84:85], s[16:17], v[128:129]
	v_fma_f64 v[128:129], v[84:85], s[12:13], v[128:129]
	;; [unrolled: 1-line block ×4, first 2 shown]
	v_add_f64 v[130:131], v[130:131], v[142:143]
	v_add_f64 v[128:129], v[128:129], v[140:141]
	;; [unrolled: 1-line block ×5, first 2 shown]
	v_add_f64 v[46:47], v[46:47], -v[82:83]
	v_mul_f64 v[82:83], v[48:49], s[26:27]
	v_fma_f64 v[86:87], v[84:85], s[30:31], v[82:83]
	v_fma_f64 v[82:83], v[84:85], s[30:31], -v[82:83]
	v_add_f64 v[54:55], v[86:87], v[54:55]
	v_mul_f64 v[86:87], v[88:89], s[30:31]
	v_add_f64 v[82:83], v[82:83], v[90:91]
	v_mul_f64 v[90:91], v[48:49], s[36:37]
	v_fma_f64 v[92:93], v[46:47], s[28:29], v[86:87]
	v_fma_f64 v[86:87], v[46:47], s[26:27], v[86:87]
	v_fma_f64 v[94:95], v[84:85], s[38:39], v[90:91]
	v_fma_f64 v[90:91], v[84:85], s[38:39], -v[90:91]
	v_add_f64 v[92:93], v[92:93], v[98:99]
	v_add_f64 v[86:87], v[86:87], v[96:97]
	v_mul_f64 v[96:97], v[88:89], s[38:39]
	v_add_f64 v[90:91], v[90:91], v[100:101]
	v_mul_f64 v[100:101], v[48:49], s[6:7]
	v_add_f64 v[94:95], v[94:95], v[102:103]
	v_fma_f64 v[98:99], v[46:47], s[34:35], v[96:97]
	v_fma_f64 v[96:97], v[46:47], s[36:37], v[96:97]
	v_fma_f64 v[102:103], v[84:85], s[10:11], v[100:101]
	v_fma_f64 v[100:101], v[84:85], s[10:11], -v[100:101]
	v_add_f64 v[98:99], v[98:99], v[106:107]
	v_add_f64 v[96:97], v[96:97], v[104:105]
	v_mul_f64 v[104:105], v[88:89], s[10:11]
	v_add_f64 v[100:101], v[100:101], v[108:109]
	v_mul_f64 v[108:109], v[48:49], s[20:21]
	v_add_f64 v[102:103], v[102:103], v[110:111]
	;; [unrolled: 10-line block ×3, first 2 shown]
	v_mul_f64 v[48:49], v[48:49], s[16:17]
	v_fma_f64 v[114:115], v[46:47], s[22:23], v[112:113]
	v_fma_f64 v[112:113], v[46:47], s[20:21], v[112:113]
	v_fma_f64 v[118:119], v[84:85], s[42:43], v[116:117]
	v_fma_f64 v[116:117], v[84:85], s[42:43], -v[116:117]
	v_add_f64 v[114:115], v[114:115], v[122:123]
	v_add_f64 v[112:113], v[112:113], v[120:121]
	v_mul_f64 v[120:121], v[88:89], s[42:43]
	v_add_f64 v[116:117], v[116:117], v[124:125]
	v_fma_f64 v[124:125], v[84:85], s[18:19], v[48:49]
	v_mul_f64 v[88:89], v[88:89], s[18:19]
	v_fma_f64 v[48:49], v[84:85], s[18:19], -v[48:49]
	v_add_f64 v[118:119], v[118:119], v[126:127]
	v_fma_f64 v[122:123], v[46:47], s[40:41], v[120:121]
	v_fma_f64 v[120:121], v[46:47], s[44:45], v[120:121]
	v_add_f64 v[124:125], v[124:125], v[132:133]
	v_fma_f64 v[126:127], v[46:47], s[12:13], v[88:89]
	v_add_f64 v[6:7], v[48:49], v[6:7]
	;; [unrolled: 2-line block ×3, first 2 shown]
	v_add_f64 v[44:45], v[44:45], -v[52:53]
	v_add_f64 v[132:133], v[34:35], v[40:41]
	v_add_f64 v[122:123], v[122:123], v[130:131]
	;; [unrolled: 1-line block ×5, first 2 shown]
	v_add_f64 v[134:135], v[36:37], -v[38:39]
	v_add_f64 v[2:3], v[46:47], v[2:3]
	v_add_f64 v[46:47], v[42:43], v[50:51]
	v_add_f64 v[42:43], v[42:43], -v[50:51]
	v_mul_f64 v[50:51], v[44:45], s[34:35]
	v_mul_f64 v[88:89], v[48:49], s[24:25]
	v_fma_f64 v[52:53], v[46:47], s[38:39], v[50:51]
	v_fma_f64 v[50:51], v[46:47], s[38:39], -v[50:51]
	v_add_f64 v[52:53], v[52:53], v[54:55]
	v_mul_f64 v[54:55], v[48:49], s[38:39]
	v_add_f64 v[50:51], v[50:51], v[82:83]
	v_fma_f64 v[84:85], v[42:43], s[36:37], v[54:55]
	v_fma_f64 v[54:55], v[42:43], s[34:35], v[54:55]
	v_add_f64 v[84:85], v[84:85], v[92:93]
	v_add_f64 v[82:83], v[54:55], v[86:87]
	v_mul_f64 v[54:55], v[44:45], s[22:23]
	v_fma_f64 v[92:93], v[42:43], s[20:21], v[88:89]
	v_fma_f64 v[86:87], v[46:47], s[24:25], v[54:55]
	v_fma_f64 v[54:55], v[46:47], s[24:25], -v[54:55]
	v_add_f64 v[92:93], v[92:93], v[98:99]
	v_add_f64 v[86:87], v[86:87], v[94:95]
	;; [unrolled: 1-line block ×3, first 2 shown]
	v_fma_f64 v[54:55], v[42:43], s[22:23], v[88:89]
	v_add_f64 v[88:89], v[54:55], v[96:97]
	v_mul_f64 v[54:55], v[44:45], s[12:13]
	v_mul_f64 v[96:97], v[48:49], s[18:19]
	v_fma_f64 v[94:95], v[46:47], s[18:19], v[54:55]
	v_fma_f64 v[54:55], v[46:47], s[18:19], -v[54:55]
	v_fma_f64 v[98:99], v[42:43], s[16:17], v[96:97]
	v_add_f64 v[94:95], v[94:95], v[102:103]
	v_add_f64 v[128:129], v[54:55], v[100:101]
	v_fma_f64 v[54:55], v[42:43], s[12:13], v[96:97]
	v_add_f64 v[106:107], v[98:99], v[106:107]
	v_add_f64 v[96:97], v[54:55], v[104:105]
	v_mul_f64 v[54:55], v[44:45], s[44:45]
	v_fma_f64 v[98:99], v[46:47], s[42:43], v[54:55]
	v_fma_f64 v[54:55], v[46:47], s[42:43], -v[54:55]
	v_add_f64 v[104:105], v[98:99], v[110:111]
	v_mul_f64 v[98:99], v[48:49], s[42:43]
	v_add_f64 v[108:109], v[54:55], v[108:109]
	v_fma_f64 v[54:55], v[42:43], s[44:45], v[98:99]
	v_fma_f64 v[100:101], v[42:43], s[40:41], v[98:99]
	v_add_f64 v[112:113], v[54:55], v[112:113]
	v_mul_f64 v[54:55], v[44:45], s[6:7]
	v_add_f64 v[110:111], v[100:101], v[114:115]
	v_mul_f64 v[44:45], v[44:45], s[26:27]
	v_fma_f64 v[98:99], v[46:47], s[10:11], v[54:55]
	v_fma_f64 v[54:55], v[46:47], s[10:11], -v[54:55]
	v_add_f64 v[114:115], v[98:99], v[118:119]
	v_mul_f64 v[98:99], v[48:49], s[10:11]
	v_add_f64 v[116:117], v[54:55], v[116:117]
	v_mul_f64 v[48:49], v[48:49], s[30:31]
	v_fma_f64 v[54:55], v[42:43], s[6:7], v[98:99]
	v_fma_f64 v[100:101], v[42:43], s[4:5], v[98:99]
	v_add_f64 v[120:121], v[54:55], v[120:121]
	v_fma_f64 v[54:55], v[46:47], s[30:31], v[44:45]
	v_fma_f64 v[44:45], v[46:47], s[30:31], -v[44:45]
	v_add_f64 v[118:119], v[100:101], v[122:123]
	v_add_f64 v[122:123], v[54:55], v[124:125]
	v_fma_f64 v[54:55], v[42:43], s[28:29], v[48:49]
	v_add_f64 v[44:45], v[44:45], v[6:7]
	v_fma_f64 v[6:7], v[42:43], s[26:27], v[48:49]
	v_add_f64 v[42:43], v[34:35], -v[40:41]
	v_mul_f64 v[34:35], v[132:133], s[42:43]
	v_add_f64 v[124:125], v[54:55], v[126:127]
	v_add_f64 v[126:127], v[6:7], v[2:3]
	v_mul_f64 v[2:3], v[42:43], s[40:41]
	v_fma_f64 v[6:7], v[130:131], s[42:43], v[2:3]
	v_fma_f64 v[2:3], v[130:131], s[42:43], -v[2:3]
	v_add_f64 v[54:55], v[6:7], v[52:53]
	v_fma_f64 v[6:7], v[134:135], s[44:45], v[34:35]
	v_add_f64 v[102:103], v[6:7], v[84:85]
	v_add_f64 v[6:7], v[2:3], v[50:51]
	v_fma_f64 v[2:3], v[134:135], s[40:41], v[34:35]
	v_mul_f64 v[34:35], v[42:43], s[6:7]
	v_add_f64 v[2:3], v[2:3], v[82:83]
	v_fma_f64 v[36:37], v[130:131], s[10:11], v[34:35]
	v_fma_f64 v[34:35], v[130:131], s[10:11], -v[34:35]
	v_add_f64 v[50:51], v[36:37], v[86:87]
	v_mul_f64 v[36:37], v[132:133], s[10:11]
	v_add_f64 v[34:35], v[34:35], v[90:91]
	v_fma_f64 v[38:39], v[134:135], s[4:5], v[36:37]
	v_fma_f64 v[36:37], v[134:135], s[6:7], v[36:37]
	v_add_f64 v[98:99], v[38:39], v[92:93]
	v_add_f64 v[82:83], v[36:37], v[88:89]
	v_mul_f64 v[36:37], v[42:43], s[34:35]
	v_mul_f64 v[88:89], v[132:133], s[30:31]
	v_mul_f64 v[92:93], v[42:43], s[22:23]
	v_fma_f64 v[38:39], v[130:131], s[38:39], v[36:37]
	v_fma_f64 v[90:91], v[134:135], s[28:29], v[88:89]
	v_fma_f64 v[36:37], v[130:131], s[38:39], -v[36:37]
	v_fma_f64 v[88:89], v[134:135], s[26:27], v[88:89]
	v_add_f64 v[52:53], v[38:39], v[94:95]
	v_mul_f64 v[38:39], v[132:133], s[38:39]
	v_add_f64 v[36:37], v[36:37], v[128:129]
	v_add_f64 v[88:89], v[88:89], v[120:121]
	v_fma_f64 v[40:41], v[134:135], s[36:37], v[38:39]
	v_fma_f64 v[38:39], v[134:135], s[34:35], v[38:39]
	v_add_f64 v[100:101], v[40:41], v[106:107]
	v_add_f64 v[84:85], v[38:39], v[96:97]
	v_mul_f64 v[38:39], v[42:43], s[16:17]
	v_add_f64 v[96:97], v[90:91], v[118:119]
	v_fma_f64 v[40:41], v[130:131], s[18:19], v[38:39]
	v_fma_f64 v[38:39], v[130:131], s[18:19], -v[38:39]
	v_add_f64 v[46:47], v[40:41], v[104:105]
	v_mul_f64 v[40:41], v[132:133], s[18:19]
	v_mul_f64 v[104:105], v[132:133], s[24:25]
	v_add_f64 v[38:39], v[38:39], v[108:109]
	v_fma_f64 v[48:49], v[134:135], s[12:13], v[40:41]
	v_fma_f64 v[40:41], v[134:135], s[16:17], v[40:41]
	;; [unrolled: 1-line block ×3, first 2 shown]
	v_add_f64 v[94:95], v[48:49], v[110:111]
	v_add_f64 v[86:87], v[40:41], v[112:113]
	v_mul_f64 v[40:41], v[42:43], s[26:27]
	v_fma_f64 v[42:43], v[130:131], s[24:25], v[92:93]
	v_fma_f64 v[92:93], v[130:131], s[24:25], -v[92:93]
	v_add_f64 v[90:91], v[90:91], v[124:125]
	v_fma_f64 v[48:49], v[130:131], s[30:31], v[40:41]
	v_fma_f64 v[40:41], v[130:131], s[30:31], -v[40:41]
	v_add_f64 v[44:45], v[92:93], v[44:45]
	v_fma_f64 v[92:93], v[134:135], s[22:23], v[104:105]
	v_lshrrev_b32_e32 v104, 1, v190
	v_add_f64 v[42:43], v[42:43], v[122:123]
	v_mul_u32_u24_e32 v104, 26, v104
	v_or_b32_e32 v104, v104, v139
	v_lshl_add_u32 v104, v104, 3, 0
	ds_write2_b64 v104, v[8:9], v[30:31] offset1:2
	ds_write2_b64 v104, v[28:29], v[32:33] offset0:4 offset1:6
	ds_write2_b64 v104, v[24:25], v[26:27] offset0:8 offset1:10
	;; [unrolled: 1-line block ×5, first 2 shown]
	ds_write_b64 v104, v[4:5] offset:192
	v_add_f64 v[48:49], v[48:49], v[114:115]
	v_lshrrev_b32_e32 v4, 1, v136
	v_add_f64 v[40:41], v[40:41], v[116:117]
	v_add_f64 v[92:93], v[92:93], v[126:127]
	v_mul_u32_u24_e32 v4, 26, v4
	v_or_b32_e32 v4, v4, v139
	v_lshl_add_u32 v105, v4, 3, 0
	ds_write2_b64 v105, v[10:11], v[54:55] offset1:2
	ds_write2_b64 v105, v[50:51], v[52:53] offset0:4 offset1:6
	ds_write2_b64 v105, v[46:47], v[48:49] offset0:8 offset1:10
	;; [unrolled: 1-line block ×5, first 2 shown]
	ds_write_b64 v105, v[6:7] offset:192
	s_waitcnt lgkmcnt(0)
	s_barrier
	buffer_gl0_inv
	ds_read2_b64 v[4:7], v156 offset1:52
	ds_read2_b64 v[52:55], v156 offset0:104 offset1:156
	ds_read2_b64 v[48:51], v157 offset0:80 offset1:132
	;; [unrolled: 1-line block ×12, first 2 shown]
	s_waitcnt lgkmcnt(0)
	s_barrier
	buffer_gl0_inv
	ds_write2_b64 v104, v[56:57], v[80:81] offset1:2
	ds_write2_b64 v104, v[76:77], v[78:79] offset0:4 offset1:6
	ds_write2_b64 v104, v[72:73], v[74:75] offset0:8 offset1:10
	;; [unrolled: 1-line block ×5, first 2 shown]
	ds_write_b64 v104, v[0:1] offset:192
	ds_write2_b64 v105, v[58:59], v[102:103] offset1:2
	ds_write2_b64 v105, v[98:99], v[100:101] offset0:4 offset1:6
	ds_write2_b64 v105, v[94:95], v[96:97] offset0:8 offset1:10
	;; [unrolled: 1-line block ×5, first 2 shown]
	ds_write_b64 v105, v[2:3] offset:192
	v_mul_i32_i24_e32 v104, 12, v150
	v_mov_b32_e32 v105, 0
	s_waitcnt lgkmcnt(0)
	s_barrier
	buffer_gl0_inv
	ds_read2_b64 v[0:3], v156 offset1:52
	ds_read2_b64 v[100:103], v156 offset0:104 offset1:156
	ds_read2_b64 v[96:99], v157 offset0:80 offset1:132
	;; [unrolled: 1-line block ×12, first 2 shown]
	v_lshlrev_b64 v[104:105], 4, v[104:105]
	v_add_co_u32 v134, s1, s8, v104
	v_add_co_ci_u32_e64 v135, s1, s9, v105, s1
	s_clause 0x3
	global_load_dwordx4 v[108:111], v[134:135], off offset:432
	global_load_dwordx4 v[120:123], v[134:135], off offset:416
	;; [unrolled: 1-line block ×4, first 2 shown]
	v_cmp_lt_u32_e64 s1, 25, v190
	s_waitcnt vmcnt(0) lgkmcnt(11)
	v_mul_f64 v[112:113], v[100:101], v[118:119]
	v_fma_f64 v[114:115], v[52:53], v[116:117], v[112:113]
	v_mul_f64 v[52:53], v[52:53], v[118:119]
	v_fma_f64 v[128:129], v[100:101], v[116:117], -v[52:53]
	s_waitcnt lgkmcnt(10)
	v_mul_f64 v[52:53], v[96:97], v[106:107]
	v_fma_f64 v[116:117], v[48:49], v[104:105], v[52:53]
	v_mul_f64 v[48:49], v[48:49], v[106:107]
	v_fma_f64 v[106:107], v[96:97], v[104:105], -v[48:49]
	s_waitcnt lgkmcnt(9)
	v_mul_f64 v[48:49], v[92:93], v[122:123]
	v_fma_f64 v[118:119], v[44:45], v[120:121], v[48:49]
	v_mul_f64 v[44:45], v[44:45], v[122:123]
	v_fma_f64 v[104:105], v[92:93], v[120:121], -v[44:45]
	s_clause 0x3
	global_load_dwordx4 v[120:123], v[134:135], off offset:496
	global_load_dwordx4 v[124:127], v[134:135], off offset:480
	;; [unrolled: 1-line block ×4, first 2 shown]
	s_waitcnt lgkmcnt(8)
	v_mul_f64 v[44:45], v[88:89], v[110:111]
	v_fma_f64 v[112:113], v[40:41], v[108:109], v[44:45]
	v_mul_f64 v[40:41], v[40:41], v[110:111]
	v_fma_f64 v[100:101], v[88:89], v[108:109], -v[40:41]
	s_waitcnt vmcnt(0) lgkmcnt(7)
	v_mul_f64 v[40:41], v[84:85], v[139:140]
	v_fma_f64 v[108:109], v[36:37], v[137:138], v[40:41]
	v_mul_f64 v[36:37], v[36:37], v[139:140]
	v_fma_f64 v[96:97], v[84:85], v[137:138], -v[36:37]
	s_waitcnt lgkmcnt(6)
	v_mul_f64 v[36:37], v[80:81], v[132:133]
	v_fma_f64 v[84:85], v[32:33], v[130:131], v[36:37]
	v_mul_f64 v[32:33], v[32:33], v[132:133]
	v_fma_f64 v[80:81], v[80:81], v[130:131], -v[32:33]
	s_waitcnt lgkmcnt(5)
	v_mul_f64 v[32:33], v[76:77], v[126:127]
	v_fma_f64 v[88:89], v[28:29], v[124:125], v[32:33]
	v_mul_f64 v[28:29], v[28:29], v[126:127]
	v_fma_f64 v[76:77], v[76:77], v[124:125], -v[28:29]
	s_clause 0x3
	global_load_dwordx4 v[130:133], v[134:135], off offset:560
	global_load_dwordx4 v[137:140], v[134:135], off offset:544
	;; [unrolled: 1-line block ×4, first 2 shown]
	s_waitcnt lgkmcnt(4)
	v_mul_f64 v[28:29], v[72:73], v[122:123]
	v_fma_f64 v[110:111], v[24:25], v[120:121], v[28:29]
	v_mul_f64 v[24:25], v[24:25], v[122:123]
	v_fma_f64 v[72:73], v[72:73], v[120:121], -v[24:25]
	s_waitcnt vmcnt(0) lgkmcnt(3)
	v_mul_f64 v[24:25], v[68:69], v[143:144]
	v_fma_f64 v[120:121], v[20:21], v[141:142], v[24:25]
	v_mul_f64 v[20:21], v[20:21], v[143:144]
	v_fma_f64 v[68:69], v[68:69], v[141:142], -v[20:21]
	s_waitcnt lgkmcnt(2)
	v_mul_f64 v[20:21], v[64:65], v[126:127]
	v_fma_f64 v[122:123], v[16:17], v[124:125], v[20:21]
	v_mul_f64 v[16:17], v[16:17], v[126:127]
	v_fma_f64 v[153:154], v[64:65], v[124:125], -v[16:17]
	s_waitcnt lgkmcnt(1)
	;; [unrolled: 5-line block ×3, first 2 shown]
	v_mul_f64 v[12:13], v[56:57], v[132:133]
	v_fma_f64 v[126:127], v[8:9], v[130:131], v[12:13]
	v_mul_f64 v[8:9], v[8:9], v[132:133]
	v_fma_f64 v[60:61], v[56:57], v[130:131], -v[8:9]
	v_and_b32_e32 v8, 0xff, v136
	v_mul_lo_u16 v8, 0x4f, v8
	v_lshrrev_b16 v148, 11, v8
	v_mul_lo_u16 v8, v148, 26
	v_sub_nc_u16 v149, v136, v8
	v_mov_b32_e32 v8, 12
	v_mul_u32_u24_sdwa v8, v149, v8 dst_sel:DWORD dst_unused:UNUSED_PAD src0_sel:BYTE_0 src1_sel:DWORD
	v_lshlrev_b32_e32 v12, 4, v8
	s_clause 0x3
	global_load_dwordx4 v[144:147], v12, s[8:9] offset:432
	global_load_dwordx4 v[162:165], v12, s[8:9] offset:416
	;; [unrolled: 1-line block ×4, first 2 shown]
	s_waitcnt vmcnt(0)
	v_mul_f64 v[8:9], v[102:103], v[132:133]
	v_fma_f64 v[142:143], v[54:55], v[130:131], v[8:9]
	v_mul_f64 v[8:9], v[54:55], v[132:133]
	v_fma_f64 v[132:133], v[102:103], v[130:131], -v[8:9]
	v_mul_f64 v[8:9], v[98:99], v[136:137]
	v_fma_f64 v[140:141], v[50:51], v[134:135], v[8:9]
	v_mul_f64 v[8:9], v[50:51], v[136:137]
	v_fma_f64 v[136:137], v[98:99], v[134:135], -v[8:9]
	;; [unrolled: 4-line block ×4, first 2 shown]
	s_clause 0x3
	global_load_dwordx4 v[40:43], v12, s[8:9] offset:496
	global_load_dwordx4 v[44:47], v12, s[8:9] offset:480
	;; [unrolled: 1-line block ×4, first 2 shown]
	s_waitcnt vmcnt(0)
	v_mul_f64 v[8:9], v[86:87], v[146:147]
	v_fma_f64 v[90:91], v[38:39], v[144:145], v[8:9]
	v_mul_f64 v[8:9], v[38:39], v[146:147]
	v_fma_f64 v[94:95], v[86:87], v[144:145], -v[8:9]
	v_mul_f64 v[8:9], v[82:83], v[50:51]
	v_fma_f64 v[52:53], v[34:35], v[48:49], v[8:9]
	v_mul_f64 v[8:9], v[34:35], v[50:51]
	v_fma_f64 v[56:57], v[82:83], v[48:49], -v[8:9]
	;; [unrolled: 4-line block ×3, first 2 shown]
	v_mul_f64 v[8:9], v[74:75], v[42:43]
	v_fma_f64 v[102:103], v[26:27], v[40:41], v[8:9]
	v_mul_f64 v[8:9], v[26:27], v[42:43]
	s_clause 0x3
	global_load_dwordx4 v[24:27], v12, s[8:9] offset:560
	global_load_dwordx4 v[28:31], v12, s[8:9] offset:544
	;; [unrolled: 1-line block ×4, first 2 shown]
	v_fma_f64 v[74:75], v[74:75], v[40:41], -v[8:9]
	s_waitcnt vmcnt(0)
	v_mul_f64 v[8:9], v[70:71], v[38:39]
	v_fma_f64 v[130:131], v[22:23], v[36:37], v[8:9]
	v_mul_f64 v[8:9], v[22:23], v[38:39]
	v_fma_f64 v[70:71], v[70:71], v[36:37], -v[8:9]
	v_mul_f64 v[8:9], v[66:67], v[34:35]
	v_fma_f64 v[134:135], v[18:19], v[32:33], v[8:9]
	v_mul_f64 v[8:9], v[18:19], v[34:35]
	v_fma_f64 v[66:67], v[66:67], v[32:33], -v[8:9]
	;; [unrolled: 4-line block ×3, first 2 shown]
	v_mul_f64 v[8:9], v[58:59], v[26:27]
	v_fma_f64 v[146:147], v[10:11], v[24:25], v[8:9]
	v_mul_f64 v[8:9], v[10:11], v[26:27]
	v_add_f64 v[10:11], v[128:129], -v[60:61]
	v_fma_f64 v[58:59], v[58:59], v[24:25], -v[8:9]
	v_add_f64 v[8:9], v[4:5], v[114:115]
	v_mul_f64 v[12:13], v[10:11], s[4:5]
	v_mul_f64 v[16:17], v[10:11], s[12:13]
	;; [unrolled: 1-line block ×6, first 2 shown]
	v_add_f64 v[8:9], v[8:9], v[116:117]
	v_add_f64 v[8:9], v[8:9], v[118:119]
	;; [unrolled: 1-line block ×12, first 2 shown]
	v_fma_f64 v[14:15], v[8:9], s[10:11], v[12:13]
	v_fma_f64 v[12:13], v[8:9], s[10:11], -v[12:13]
	v_fma_f64 v[18:19], v[8:9], s[18:19], v[16:17]
	v_fma_f64 v[16:17], v[8:9], s[18:19], -v[16:17]
	;; [unrolled: 2-line block ×6, first 2 shown]
	v_add_f64 v[10:11], v[106:107], -v[64:65]
	v_add_f64 v[14:15], v[4:5], v[14:15]
	v_add_f64 v[12:13], v[4:5], v[12:13]
	;; [unrolled: 1-line block ×13, first 2 shown]
	v_mul_f64 v[36:37], v[10:11], s[12:13]
	v_fma_f64 v[38:39], v[8:9], s[18:19], v[36:37]
	v_fma_f64 v[36:37], v[8:9], s[18:19], -v[36:37]
	v_add_f64 v[14:15], v[38:39], v[14:15]
	v_add_f64 v[12:13], v[36:37], v[12:13]
	v_mul_f64 v[36:37], v[10:11], s[26:27]
	v_fma_f64 v[38:39], v[8:9], s[30:31], v[36:37]
	v_fma_f64 v[36:37], v[8:9], s[30:31], -v[36:37]
	v_add_f64 v[18:19], v[38:39], v[18:19]
	v_add_f64 v[16:17], v[36:37], v[16:17]
	v_mul_f64 v[36:37], v[10:11], s[40:41]
	v_fma_f64 v[38:39], v[8:9], s[42:43], v[36:37]
	v_fma_f64 v[36:37], v[8:9], s[42:43], -v[36:37]
	v_add_f64 v[24:25], v[38:39], v[24:25]
	v_add_f64 v[20:21], v[36:37], v[20:21]
	v_mul_f64 v[36:37], v[10:11], s[36:37]
	v_fma_f64 v[38:39], v[8:9], s[38:39], v[36:37]
	v_fma_f64 v[36:37], v[8:9], s[38:39], -v[36:37]
	v_add_f64 v[28:29], v[38:39], v[28:29]
	v_add_f64 v[26:27], v[36:37], v[26:27]
	v_mul_f64 v[36:37], v[10:11], s[22:23]
	v_mul_f64 v[10:11], v[10:11], s[6:7]
	v_fma_f64 v[38:39], v[8:9], s[24:25], v[36:37]
	v_fma_f64 v[36:37], v[8:9], s[24:25], -v[36:37]
	v_add_f64 v[32:33], v[38:39], v[32:33]
	v_add_f64 v[30:31], v[36:37], v[30:31]
	v_fma_f64 v[36:37], v[8:9], s[10:11], v[10:11]
	v_fma_f64 v[8:9], v[8:9], s[10:11], -v[10:11]
	v_add_f64 v[10:11], v[104:105], -v[153:154]
	v_add_f64 v[34:35], v[36:37], v[34:35]
	v_add_f64 v[4:5], v[8:9], v[4:5]
	v_add_f64 v[8:9], v[118:119], v[122:123]
	v_mul_f64 v[36:37], v[10:11], s[20:21]
	v_fma_f64 v[38:39], v[8:9], s[24:25], v[36:37]
	v_fma_f64 v[36:37], v[8:9], s[24:25], -v[36:37]
	v_add_f64 v[14:15], v[38:39], v[14:15]
	v_add_f64 v[12:13], v[36:37], v[12:13]
	v_mul_f64 v[36:37], v[10:11], s[40:41]
	v_fma_f64 v[38:39], v[8:9], s[42:43], v[36:37]
	v_fma_f64 v[36:37], v[8:9], s[42:43], -v[36:37]
	v_add_f64 v[18:19], v[38:39], v[18:19]
	v_add_f64 v[16:17], v[36:37], v[16:17]
	v_mul_f64 v[36:37], v[10:11], s[28:29]
	v_fma_f64 v[38:39], v[8:9], s[30:31], v[36:37]
	v_fma_f64 v[36:37], v[8:9], s[30:31], -v[36:37]
	v_add_f64 v[24:25], v[38:39], v[24:25]
	v_add_f64 v[20:21], v[36:37], v[20:21]
	v_mul_f64 v[36:37], v[10:11], s[6:7]
	v_fma_f64 v[38:39], v[8:9], s[10:11], v[36:37]
	v_fma_f64 v[36:37], v[8:9], s[10:11], -v[36:37]
	v_add_f64 v[28:29], v[38:39], v[28:29]
	v_add_f64 v[26:27], v[36:37], v[26:27]
	v_mul_f64 v[36:37], v[10:11], s[12:13]
	v_mul_f64 v[10:11], v[10:11], s[34:35]
	v_fma_f64 v[38:39], v[8:9], s[18:19], v[36:37]
	v_fma_f64 v[36:37], v[8:9], s[18:19], -v[36:37]
	v_add_f64 v[32:33], v[38:39], v[32:33]
	v_add_f64 v[30:31], v[36:37], v[30:31]
	v_fma_f64 v[36:37], v[8:9], s[38:39], v[10:11]
	v_fma_f64 v[8:9], v[8:9], s[38:39], -v[10:11]
	v_add_f64 v[10:11], v[100:101], -v[68:69]
	v_add_f64 v[34:35], v[36:37], v[34:35]
	v_add_f64 v[4:5], v[8:9], v[4:5]
	v_add_f64 v[8:9], v[112:113], v[120:121]
	;; [unrolled: 32-line block ×3, first 2 shown]
	v_mul_f64 v[36:37], v[10:11], s[34:35]
	v_fma_f64 v[38:39], v[8:9], s[38:39], v[36:37]
	v_fma_f64 v[36:37], v[8:9], s[38:39], -v[36:37]
	v_add_f64 v[14:15], v[38:39], v[14:15]
	v_add_f64 v[12:13], v[36:37], v[12:13]
	v_mul_f64 v[36:37], v[10:11], s[22:23]
	v_fma_f64 v[38:39], v[8:9], s[24:25], v[36:37]
	v_add_f64 v[38:39], v[38:39], v[18:19]
	v_fma_f64 v[18:19], v[8:9], s[24:25], -v[36:37]
	v_add_f64 v[16:17], v[18:19], v[16:17]
	v_mul_f64 v[18:19], v[10:11], s[12:13]
	v_fma_f64 v[36:37], v[8:9], s[18:19], v[18:19]
	v_fma_f64 v[18:19], v[8:9], s[18:19], -v[18:19]
	v_add_f64 v[24:25], v[36:37], v[24:25]
	v_add_f64 v[20:21], v[18:19], v[20:21]
	v_mul_f64 v[18:19], v[10:11], s[44:45]
	v_fma_f64 v[36:37], v[8:9], s[42:43], v[18:19]
	v_fma_f64 v[18:19], v[8:9], s[42:43], -v[18:19]
	v_add_f64 v[28:29], v[36:37], v[28:29]
	v_add_f64 v[26:27], v[18:19], v[26:27]
	v_mul_f64 v[18:19], v[10:11], s[6:7]
	v_mul_f64 v[10:11], v[10:11], s[26:27]
	v_fma_f64 v[36:37], v[8:9], s[10:11], v[18:19]
	v_fma_f64 v[18:19], v[8:9], s[10:11], -v[18:19]
	v_add_f64 v[36:37], v[36:37], v[32:33]
	v_add_f64 v[40:41], v[18:19], v[30:31]
	v_fma_f64 v[18:19], v[8:9], s[30:31], v[10:11]
	v_fma_f64 v[8:9], v[8:9], s[30:31], -v[10:11]
	v_add_f64 v[10:11], v[80:81], -v[76:77]
	v_add_f64 v[151:152], v[18:19], v[34:35]
	v_add_f64 v[4:5], v[8:9], v[4:5]
	;; [unrolled: 1-line block ×3, first 2 shown]
	v_mul_f64 v[18:19], v[10:11], s[40:41]
	v_fma_f64 v[30:31], v[8:9], s[42:43], v[18:19]
	v_add_f64 v[50:51], v[30:31], v[14:15]
	v_fma_f64 v[14:15], v[8:9], s[42:43], -v[18:19]
	v_add_f64 v[18:19], v[14:15], v[12:13]
	v_mul_f64 v[12:13], v[10:11], s[6:7]
	v_fma_f64 v[14:15], v[8:9], s[10:11], v[12:13]
	v_fma_f64 v[12:13], v[8:9], s[10:11], -v[12:13]
	v_add_f64 v[46:47], v[14:15], v[38:39]
	v_add_f64 v[30:31], v[12:13], v[16:17]
	v_mul_f64 v[12:13], v[10:11], s[34:35]
	v_fma_f64 v[14:15], v[8:9], s[38:39], v[12:13]
	v_fma_f64 v[12:13], v[8:9], s[38:39], -v[12:13]
	v_add_f64 v[48:49], v[14:15], v[24:25]
	v_add_f64 v[32:33], v[12:13], v[20:21]
	v_mul_f64 v[12:13], v[10:11], s[16:17]
	v_fma_f64 v[14:15], v[8:9], s[18:19], v[12:13]
	v_fma_f64 v[12:13], v[8:9], s[18:19], -v[12:13]
	v_add_f64 v[42:43], v[14:15], v[28:29]
	v_add_f64 v[34:35], v[12:13], v[26:27]
	v_mul_f64 v[12:13], v[10:11], s[26:27]
	v_mul_f64 v[10:11], v[10:11], s[22:23]
	v_fma_f64 v[14:15], v[8:9], s[30:31], v[12:13]
	v_fma_f64 v[12:13], v[8:9], s[30:31], -v[12:13]
	v_add_f64 v[44:45], v[14:15], v[36:37]
	v_add_f64 v[36:37], v[12:13], v[40:41]
	v_fma_f64 v[12:13], v[8:9], s[24:25], v[10:11]
	v_fma_f64 v[8:9], v[8:9], s[24:25], -v[10:11]
	v_add_f64 v[38:39], v[12:13], v[151:152]
	v_add_f64 v[40:41], v[8:9], v[4:5]
	;; [unrolled: 1-line block ×3, first 2 shown]
	v_add_f64 v[8:9], v[132:133], -v[58:59]
	v_add_f64 v[4:5], v[4:5], v[140:141]
	v_mul_f64 v[10:11], v[8:9], s[4:5]
	v_mul_f64 v[14:15], v[8:9], s[12:13]
	;; [unrolled: 1-line block ×6, first 2 shown]
	v_add_f64 v[4:5], v[4:5], v[98:99]
	v_add_f64 v[4:5], v[4:5], v[54:55]
	buffer_store_dword v54, off, s[48:51], 0 offset:8 ; 4-byte Folded Spill
	buffer_store_dword v55, off, s[48:51], 0 offset:12 ; 4-byte Folded Spill
	v_add_f64 v[4:5], v[4:5], v[90:91]
	v_add_f64 v[4:5], v[4:5], v[52:53]
	buffer_store_dword v52, off, s[48:51], 0 ; 4-byte Folded Spill
	buffer_store_dword v53, off, s[48:51], 0 offset:4 ; 4-byte Folded Spill
	buffer_store_dword v56, off, s[48:51], 0 offset:16 ; 4-byte Folded Spill
	buffer_store_dword v57, off, s[48:51], 0 offset:20 ; 4-byte Folded Spill
	s_waitcnt_vscnt null, 0x0
	s_barrier
	buffer_gl0_inv
	v_add_f64 v[4:5], v[4:5], v[86:87]
	v_add_f64 v[4:5], v[4:5], v[102:103]
	;; [unrolled: 1-line block ×7, first 2 shown]
	v_fma_f64 v[12:13], v[4:5], s[10:11], v[10:11]
	v_fma_f64 v[10:11], v[4:5], s[10:11], -v[10:11]
	v_fma_f64 v[20:21], v[4:5], s[18:19], v[14:15]
	v_fma_f64 v[14:15], v[4:5], s[18:19], -v[14:15]
	;; [unrolled: 2-line block ×6, first 2 shown]
	v_add_f64 v[8:9], v[136:137], -v[62:63]
	v_add_f64 v[12:13], v[6:7], v[12:13]
	v_add_f64 v[10:11], v[6:7], v[10:11]
	;; [unrolled: 1-line block ×13, first 2 shown]
	v_mul_f64 v[172:173], v[8:9], s[12:13]
	v_fma_f64 v[174:175], v[6:7], s[18:19], v[172:173]
	v_fma_f64 v[172:173], v[6:7], s[18:19], -v[172:173]
	v_add_f64 v[12:13], v[174:175], v[12:13]
	v_add_f64 v[10:11], v[172:173], v[10:11]
	v_mul_f64 v[172:173], v[8:9], s[26:27]
	v_fma_f64 v[174:175], v[6:7], s[30:31], v[172:173]
	v_fma_f64 v[172:173], v[6:7], s[30:31], -v[172:173]
	v_add_f64 v[20:21], v[174:175], v[20:21]
	v_add_f64 v[14:15], v[172:173], v[14:15]
	v_mul_f64 v[172:173], v[8:9], s[40:41]
	v_fma_f64 v[174:175], v[6:7], s[42:43], v[172:173]
	v_fma_f64 v[172:173], v[6:7], s[42:43], -v[172:173]
	v_add_f64 v[182:183], v[52:53], v[86:87]
	v_add_f64 v[184:185], v[56:57], -v[78:79]
	v_lshlrev_b32_e32 v52, 3, v150
	v_add_f64 v[26:27], v[174:175], v[26:27]
	v_add_f64 v[24:25], v[172:173], v[24:25]
	v_mul_f64 v[172:173], v[8:9], s[36:37]
	v_fma_f64 v[174:175], v[6:7], s[38:39], v[172:173]
	v_fma_f64 v[172:173], v[6:7], s[38:39], -v[172:173]
	v_add_f64 v[151:152], v[174:175], v[151:152]
	v_add_f64 v[28:29], v[172:173], v[28:29]
	v_mul_f64 v[172:173], v[8:9], s[22:23]
	v_mul_f64 v[8:9], v[8:9], s[6:7]
	v_fma_f64 v[174:175], v[6:7], s[24:25], v[172:173]
	v_fma_f64 v[172:173], v[6:7], s[24:25], -v[172:173]
	v_add_f64 v[164:165], v[174:175], v[164:165]
	v_add_f64 v[162:163], v[172:173], v[162:163]
	v_fma_f64 v[172:173], v[6:7], s[10:11], v[8:9]
	v_fma_f64 v[6:7], v[6:7], s[10:11], -v[8:9]
	v_add_f64 v[8:9], v[138:139], -v[66:67]
	v_add_f64 v[166:167], v[172:173], v[166:167]
	v_add_f64 v[4:5], v[6:7], v[4:5]
	v_add_f64 v[6:7], v[98:99], v[134:135]
	v_mul_f64 v[172:173], v[8:9], s[20:21]
	v_fma_f64 v[174:175], v[6:7], s[24:25], v[172:173]
	v_fma_f64 v[172:173], v[6:7], s[24:25], -v[172:173]
	v_add_f64 v[12:13], v[174:175], v[12:13]
	v_add_f64 v[10:11], v[172:173], v[10:11]
	v_mul_f64 v[172:173], v[8:9], s[40:41]
	v_fma_f64 v[174:175], v[6:7], s[42:43], v[172:173]
	v_fma_f64 v[172:173], v[6:7], s[42:43], -v[172:173]
	v_add_f64 v[20:21], v[174:175], v[20:21]
	v_add_f64 v[14:15], v[172:173], v[14:15]
	v_mul_f64 v[172:173], v[8:9], s[28:29]
	v_fma_f64 v[174:175], v[6:7], s[30:31], v[172:173]
	v_fma_f64 v[172:173], v[6:7], s[30:31], -v[172:173]
	v_add_f64 v[26:27], v[174:175], v[26:27]
	v_add_f64 v[24:25], v[172:173], v[24:25]
	v_mul_f64 v[172:173], v[8:9], s[6:7]
	v_fma_f64 v[174:175], v[6:7], s[10:11], v[172:173]
	v_fma_f64 v[172:173], v[6:7], s[10:11], -v[172:173]
	v_add_f64 v[151:152], v[174:175], v[151:152]
	v_add_f64 v[28:29], v[172:173], v[28:29]
	v_mul_f64 v[172:173], v[8:9], s[12:13]
	v_mul_f64 v[8:9], v[8:9], s[34:35]
	v_fma_f64 v[174:175], v[6:7], s[18:19], v[172:173]
	v_fma_f64 v[172:173], v[6:7], s[18:19], -v[172:173]
	v_add_f64 v[164:165], v[174:175], v[164:165]
	v_add_f64 v[162:163], v[172:173], v[162:163]
	v_fma_f64 v[172:173], v[6:7], s[38:39], v[8:9]
	v_fma_f64 v[6:7], v[6:7], s[38:39], -v[8:9]
	v_add_f64 v[8:9], v[92:93], -v[70:71]
	v_add_f64 v[166:167], v[172:173], v[166:167]
	v_add_f64 v[4:5], v[6:7], v[4:5]
	v_add_f64 v[6:7], v[54:55], v[130:131]
	v_mul_f64 v[172:173], v[8:9], s[26:27]
	v_fma_f64 v[174:175], v[6:7], s[30:31], v[172:173]
	v_fma_f64 v[172:173], v[6:7], s[30:31], -v[172:173]
	v_add_f64 v[12:13], v[174:175], v[12:13]
	v_add_f64 v[10:11], v[172:173], v[10:11]
	v_mul_f64 v[172:173], v[8:9], s[36:37]
	v_fma_f64 v[174:175], v[6:7], s[38:39], v[172:173]
	v_fma_f64 v[172:173], v[6:7], s[38:39], -v[172:173]
	v_add_f64 v[20:21], v[174:175], v[20:21]
	v_add_f64 v[14:15], v[172:173], v[14:15]
	v_mul_f64 v[172:173], v[8:9], s[6:7]
	v_fma_f64 v[174:175], v[6:7], s[10:11], v[172:173]
	v_fma_f64 v[172:173], v[6:7], s[10:11], -v[172:173]
	;; [unrolled: 32-line block ×3, first 2 shown]
	v_add_f64 v[26:27], v[174:175], v[26:27]
	v_add_f64 v[176:177], v[172:173], v[24:25]
	v_mul_f64 v[24:25], v[8:9], s[44:45]
	v_fma_f64 v[172:173], v[6:7], s[42:43], v[24:25]
	v_fma_f64 v[24:25], v[6:7], s[42:43], -v[24:25]
	v_add_f64 v[151:152], v[172:173], v[151:152]
	v_add_f64 v[178:179], v[24:25], v[28:29]
	v_mul_f64 v[24:25], v[8:9], s[6:7]
	v_mul_f64 v[8:9], v[8:9], s[26:27]
	v_fma_f64 v[28:29], v[6:7], s[10:11], v[24:25]
	v_fma_f64 v[24:25], v[6:7], s[10:11], -v[24:25]
	v_add_f64 v[164:165], v[28:29], v[164:165]
	v_add_f64 v[162:163], v[24:25], v[162:163]
	v_fma_f64 v[24:25], v[6:7], s[30:31], v[8:9]
	v_fma_f64 v[6:7], v[6:7], s[30:31], -v[8:9]
	v_add_f64 v[166:167], v[24:25], v[166:167]
	v_add_f64 v[180:181], v[6:7], v[4:5]
	v_mul_f64 v[4:5], v[184:185], s[40:41]
	v_fma_f64 v[6:7], v[182:183], s[42:43], v[4:5]
	v_fma_f64 v[4:5], v[182:183], s[42:43], -v[4:5]
	v_add_f64 v[28:29], v[6:7], v[12:13]
	v_add_f64 v[174:175], v[4:5], v[10:11]
	v_mul_f64 v[4:5], v[184:185], s[6:7]
	v_mul_f64 v[12:13], v[184:185], s[22:23]
	v_fma_f64 v[6:7], v[182:183], s[10:11], v[4:5]
	v_fma_f64 v[4:5], v[182:183], s[10:11], -v[4:5]
	v_add_f64 v[24:25], v[6:7], v[20:21]
	v_add_f64 v[172:173], v[4:5], v[14:15]
	v_mul_f64 v[4:5], v[184:185], s[34:35]
	v_fma_f64 v[6:7], v[182:183], s[38:39], v[4:5]
	v_fma_f64 v[4:5], v[182:183], s[38:39], -v[4:5]
	v_add_f64 v[26:27], v[6:7], v[26:27]
	v_mul_f64 v[6:7], v[184:185], s[16:17]
	v_add_f64 v[4:5], v[4:5], v[176:177]
	v_fma_f64 v[8:9], v[182:183], s[18:19], v[6:7]
	v_fma_f64 v[6:7], v[182:183], s[18:19], -v[6:7]
	v_add_f64 v[14:15], v[8:9], v[151:152]
	v_mul_f64 v[8:9], v[184:185], s[26:27]
	v_cndmask_b32_e64 v151, 0, 0xa90, s1
	v_add_f64 v[6:7], v[6:7], v[178:179]
	v_fma_f64 v[10:11], v[182:183], s[30:31], v[8:9]
	v_fma_f64 v[8:9], v[182:183], s[30:31], -v[8:9]
	v_add_f64 v[20:21], v[10:11], v[164:165]
	v_fma_f64 v[10:11], v[182:183], s[24:25], v[12:13]
	v_fma_f64 v[12:13], v[182:183], s[24:25], -v[12:13]
	v_add_f64 v[8:9], v[8:9], v[162:163]
	v_add3_u32 v162, 0, v151, v52
	ds_write2_b64 v162, v[22:23], v[50:51] offset1:26
	ds_write2_b64 v162, v[46:47], v[48:49] offset0:52 offset1:78
	ds_write2_b64 v162, v[42:43], v[44:45] offset0:104 offset1:130
	;; [unrolled: 1-line block ×4, first 2 shown]
	v_add_nc_u32_e32 v163, 0x800, v162
	ds_write2_b64 v163, v[32:33], v[30:31] offset0:4 offset1:30
	ds_write_b64 v162, v[18:19] offset:2496
	v_mov_b32_e32 v18, 0xa90
	v_mov_b32_e32 v19, 3
                                        ; implicit-def: $vgpr52_vgpr53
                                        ; kill: killed $vgpr52_vgpr53
                                        ; implicit-def: $vgpr52_vgpr53
                                        ; kill: killed $vgpr52_vgpr53
	v_mul_u32_u24_sdwa v18, v148, v18 dst_sel:DWORD dst_unused:UNUSED_PAD src0_sel:WORD_0 src1_sel:DWORD
	v_lshlrev_b32_sdwa v19, v19, v149 dst_sel:DWORD dst_unused:UNUSED_PAD src0_sel:DWORD src1_sel:BYTE_0
	v_add_f64 v[10:11], v[10:11], v[166:167]
	v_add_f64 v[12:13], v[12:13], v[180:181]
	v_add_nc_u32_e32 v166, 0x1c00, v156
	v_add3_u32 v164, 0, v18, v19
	ds_write2_b64 v164, v[16:17], v[28:29] offset1:26
	ds_write2_b64 v164, v[24:25], v[26:27] offset0:52 offset1:78
	ds_write2_b64 v164, v[14:15], v[20:21] offset0:104 offset1:130
	;; [unrolled: 1-line block ×4, first 2 shown]
	v_add_nc_u32_e32 v165, 0x800, v164
	ds_write2_b64 v165, v[4:5], v[172:173] offset0:4 offset1:30
	ds_write_b64 v164, v[174:175] offset:2496
	s_waitcnt lgkmcnt(0)
	s_barrier
	buffer_gl0_inv
	ds_read2_b64 v[4:7], v156 offset1:52
	ds_read2_b64 v[20:23], v158 offset0:82 offset1:134
	ds_read2_b64 v[16:19], v159 offset0:164 offset1:216
	ds_read2_b64 v[32:35], v166 offset0:118 offset1:170
	ds_read2_b64 v[12:15], v156 offset0:104 offset1:156
	ds_read2_b64 v[36:39], v158 offset0:186 offset1:238
	ds_read2_b64 v[24:27], v160 offset0:12 offset1:64
	ds_read2_b64 v[28:31], v161 offset0:94 offset1:146
	ds_read2_b64 v[8:11], v157 offset0:80 offset1:132
	ds_read2_b64 v[44:47], v159 offset0:34 offset1:86
	ds_read2_b64 v[48:51], v160 offset0:116 offset1:168
	ds_read2_b64 v[40:43], v161 offset0:198 offset1:250
	s_and_saveexec_b32 s1, s0
	s_cbranch_execz .LBB0_15
; %bb.14:
	ds_read_b64 v[172:173], v156 offset:2496
	ds_read_b64 v[174:175], v156 offset:5200
	;; [unrolled: 1-line block ×3, first 2 shown]
	s_waitcnt lgkmcnt(0)
	buffer_store_dword v52, off, s[48:51], 0 offset:24 ; 4-byte Folded Spill
	buffer_store_dword v53, off, s[48:51], 0 offset:28 ; 4-byte Folded Spill
	ds_read_b64 v[52:53], v156 offset:10608
	s_waitcnt lgkmcnt(0)
	buffer_store_dword v52, off, s[48:51], 0 offset:32 ; 4-byte Folded Spill
	buffer_store_dword v53, off, s[48:51], 0 offset:36 ; 4-byte Folded Spill
.LBB0_15:
	s_or_b32 exec_lo, exec_lo, s1
	v_add_f64 v[148:149], v[0:1], v[128:129]
	v_add_f64 v[128:129], v[128:129], v[60:61]
	;; [unrolled: 1-line block ×3, first 2 shown]
	v_mov_b32_e32 v82, v153
	v_mov_b32_e32 v83, v154
	v_add_f64 v[114:115], v[114:115], -v[126:127]
	v_add_f64 v[116:117], v[116:117], -v[124:125]
	;; [unrolled: 1-line block ×4, first 2 shown]
	v_add_f64 v[152:153], v[104:105], v[82:83]
	v_add_f64 v[122:123], v[100:101], v[68:69]
	v_add_f64 v[120:121], v[112:113], -v[120:121]
	v_add_f64 v[112:113], v[96:97], v[72:73]
	v_mov_b32_e32 v54, v60
	v_mov_b32_e32 v56, v64
	;; [unrolled: 1-line block ×4, first 2 shown]
	v_add_f64 v[142:143], v[142:143], -v[146:147]
	v_add_f64 v[84:85], v[84:85], -v[88:89]
	v_add_f64 v[88:89], v[132:133], v[58:59]
	v_add_f64 v[132:133], v[2:3], v[132:133]
	v_add_f64 v[140:141], v[140:141], -v[144:145]
	v_add_f64 v[106:107], v[148:149], v[106:107]
	v_mul_f64 v[108:109], v[128:129], s[10:11]
	v_mul_f64 v[110:111], v[128:129], s[18:19]
	;; [unrolled: 1-line block ×21, first 2 shown]
	v_add_f64 v[104:105], v[106:107], v[104:105]
	v_fma_f64 v[106:107], v[114:115], s[6:7], v[108:109]
	v_fma_f64 v[108:109], v[114:115], s[4:5], v[108:109]
	;; [unrolled: 1-line block ×8, first 2 shown]
	v_mul_f64 v[210:211], v[122:123], s[24:25]
	v_mul_f64 v[212:213], v[122:123], s[42:43]
	;; [unrolled: 1-line block ×5, first 2 shown]
	v_fma_f64 v[224:225], v[114:115], s[36:37], v[148:149]
	v_fma_f64 v[148:149], v[114:115], s[34:35], v[148:149]
	;; [unrolled: 1-line block ×8, first 2 shown]
	v_add_f64 v[100:101], v[104:105], v[100:101]
	v_fma_f64 v[230:231], v[116:117], s[44:45], v[186:187]
	v_fma_f64 v[186:187], v[116:117], s[40:41], v[186:187]
	;; [unrolled: 1-line block ×8, first 2 shown]
	v_add_f64 v[104:105], v[0:1], v[106:107]
	v_add_f64 v[106:107], v[0:1], v[108:109]
	;; [unrolled: 1-line block ×7, first 2 shown]
	v_mul_f64 v[252:253], v[112:113], s[18:19]
	v_mul_f64 v[154:155], v[112:113], s[42:43]
	;; [unrolled: 1-line block ×4, first 2 shown]
	v_fma_f64 v[240:241], v[118:119], s[22:23], v[194:195]
	v_fma_f64 v[194:195], v[118:119], s[20:21], v[194:195]
	v_add_f64 v[254:255], v[100:101], v[96:97]
	v_fma_f64 v[242:243], v[118:119], s[44:45], v[196:197]
	v_fma_f64 v[196:197], v[118:119], s[40:41], v[196:197]
	;; [unrolled: 1-line block ×8, first 2 shown]
	v_add_f64 v[220:221], v[0:1], v[222:223]
	v_add_f64 v[222:223], v[0:1], v[224:225]
	;; [unrolled: 1-line block ×3, first 2 shown]
	v_fma_f64 v[248:249], v[118:119], s[36:37], v[152:153]
	v_fma_f64 v[250:251], v[118:119], s[34:35], v[152:153]
	v_add_f64 v[176:177], v[114:115], v[104:105]
	v_add_f64 v[60:61], v[128:129], v[106:107]
	v_fma_f64 v[64:65], v[120:121], s[28:29], v[204:205]
	v_fma_f64 v[204:205], v[120:121], s[26:27], v[204:205]
	v_add_f64 v[182:183], v[182:183], v[108:109]
	v_fma_f64 v[152:153], v[120:121], s[34:35], v[206:207]
	v_fma_f64 v[150:151], v[120:121], s[36:37], v[206:207]
	v_add_f64 v[184:185], v[184:185], v[110:111]
	v_fma_f64 v[148:149], v[120:121], s[4:5], v[208:209]
	v_add_f64 v[206:207], v[230:231], v[116:117]
	v_add_f64 v[186:187], v[186:187], v[124:125]
	;; [unrolled: 1-line block ×3, first 2 shown]
	v_fma_f64 v[128:129], v[120:121], s[6:7], v[208:209]
	v_fma_f64 v[126:127], v[120:121], s[22:23], v[210:211]
	v_fma_f64 v[124:125], v[120:121], s[20:21], v[210:211]
	v_fma_f64 v[110:111], v[120:121], s[40:41], v[212:213]
	v_fma_f64 v[112:113], v[120:121], s[44:45], v[212:213]
	v_fma_f64 v[114:115], v[120:121], s[12:13], v[122:123]
	v_fma_f64 v[116:117], v[120:121], s[16:17], v[122:123]
	v_fma_f64 v[118:119], v[180:181], s[36:37], v[214:215]
	v_fma_f64 v[120:121], v[180:181], s[34:35], v[214:215]
	v_fma_f64 v[122:123], v[180:181], s[20:21], v[216:217]
	v_fma_f64 v[96:97], v[180:181], s[22:23], v[216:217]
	v_fma_f64 v[100:101], v[180:181], s[16:17], v[252:253]
	v_fma_f64 v[104:105], v[180:181], s[12:13], v[252:253]
	v_fma_f64 v[106:107], v[180:181], s[40:41], v[154:155]
	v_fma_f64 v[108:109], v[180:181], s[44:45], v[154:155]
	v_fma_f64 v[146:147], v[180:181], s[4:5], v[178:179]
	v_fma_f64 v[154:155], v[180:181], s[6:7], v[178:179]
	v_fma_f64 v[178:179], v[180:181], s[28:29], v[52:53]
	v_fma_f64 v[52:53], v[180:181], s[26:27], v[52:53]
	v_add_f64 v[180:181], v[254:255], v[80:81]
	v_add_f64 v[208:209], v[0:1], v[226:227]
	;; [unrolled: 1-line block ×5, first 2 shown]
	v_mul_f64 v[80:81], v[88:89], s[10:11]
	v_mul_f64 v[212:213], v[88:89], s[24:25]
	;; [unrolled: 1-line block ×3, first 2 shown]
	v_add_f64 v[60:61], v[194:195], v[60:61]
	v_mul_f64 v[194:195], v[88:89], s[38:39]
	v_add_f64 v[220:221], v[232:233], v[220:221]
	v_add_f64 v[222:223], v[234:235], v[222:223]
	;; [unrolled: 1-line block ×8, first 2 shown]
	v_add_f64 v[98:99], v[98:99], -v[134:135]
	v_add_f64 v[90:91], v[90:91], -v[102:103]
	v_add_f64 v[76:77], v[180:181], v[76:77]
	v_add_f64 v[180:181], v[236:237], v[208:209]
	v_mul_f64 v[208:209], v[88:89], s[18:19]
	v_mul_f64 v[88:89], v[88:89], s[42:43]
	v_add_f64 v[132:133], v[132:133], v[138:139]
	v_add_f64 v[210:211], v[238:239], v[210:211]
	v_fma_f64 v[224:225], v[142:143], s[22:23], v[212:213]
	v_fma_f64 v[212:213], v[142:143], s[20:21], v[212:213]
	;; [unrolled: 1-line block ×6, first 2 shown]
	v_add_f64 v[196:197], v[246:247], v[220:221]
	v_add_f64 v[138:139], v[138:139], v[66:67]
	;; [unrolled: 1-line block ×3, first 2 shown]
	v_mul_f64 v[202:203], v[136:137], s[18:19]
	v_mul_f64 v[220:221], v[136:137], s[42:43]
	v_add_f64 v[64:65], v[64:65], v[176:177]
	v_mul_f64 v[176:177], v[136:137], s[24:25]
	v_add_f64 v[60:61], v[204:205], v[60:61]
	v_add_f64 v[144:145], v[150:151], v[144:145]
	;; [unrolled: 1-line block ×4, first 2 shown]
	v_fma_f64 v[76:77], v[142:143], s[6:7], v[80:81]
	v_fma_f64 v[80:81], v[142:143], s[4:5], v[80:81]
	;; [unrolled: 1-line block ×3, first 2 shown]
	v_add_f64 v[132:133], v[132:133], v[92:93]
	v_fma_f64 v[208:209], v[142:143], s[12:13], v[208:209]
	v_fma_f64 v[230:231], v[142:143], s[44:45], v[88:89]
	;; [unrolled: 1-line block ×3, first 2 shown]
	v_add_f64 v[142:143], v[242:243], v[182:183]
	v_add_f64 v[182:183], v[244:245], v[206:207]
	;; [unrolled: 1-line block ×3, first 2 shown]
	v_mul_f64 v[222:223], v[136:137], s[38:39]
	v_add_f64 v[124:125], v[124:125], v[188:189]
	v_mul_f64 v[198:199], v[0:1], s[10:11]
	v_add_f64 v[210:211], v[250:251], v[210:211]
	;; [unrolled: 2-line block ×3, first 2 shown]
	v_fma_f64 v[232:233], v[140:141], s[16:17], v[202:203]
	v_add_f64 v[126:127], v[126:127], v[196:197]
	v_add_f64 v[112:113], v[112:113], v[192:193]
	;; [unrolled: 1-line block ×5, first 2 shown]
	v_mul_f64 v[72:73], v[136:137], s[30:31]
	v_mul_f64 v[136:137], v[136:137], s[10:11]
	v_add_f64 v[76:77], v[2:3], v[76:77]
	v_add_f64 v[132:133], v[132:133], v[94:95]
	;; [unrolled: 1-line block ×8, first 2 shown]
	v_mul_f64 v[144:145], v[138:139], s[42:43]
	v_add_f64 v[108:109], v[108:109], v[124:125]
	v_mul_f64 v[124:125], v[138:139], s[24:25]
	v_add_f64 v[92:93], v[92:93], v[70:71]
	v_fma_f64 v[152:153], v[84:85], s[4:5], v[198:199]
	v_add_f64 v[116:117], v[116:117], v[210:211]
	v_add_f64 v[64:65], v[118:119], v[64:65]
	v_fma_f64 v[204:205], v[84:85], s[44:45], v[186:187]
	v_fma_f64 v[186:187], v[84:85], s[40:41], v[186:187]
	;; [unrolled: 1-line block ×4, first 2 shown]
	v_add_f64 v[68:69], v[68:69], v[82:83]
	s_clause 0x1
	buffer_load_dword v82, off, s[48:51], 0 offset:16
	buffer_load_dword v83, off, s[48:51], 0 offset:20
	v_fma_f64 v[184:185], v[140:141], s[28:29], v[72:73]
	v_fma_f64 v[134:135], v[140:141], s[4:5], v[136:137]
	;; [unrolled: 1-line block ×6, first 2 shown]
	v_add_f64 v[118:119], v[122:123], v[142:143]
	v_add_f64 v[80:81], v[2:3], v[80:81]
	;; [unrolled: 1-line block ×15, first 2 shown]
	v_fma_f64 v[126:127], v[140:141], s[22:23], v[176:177]
	v_mul_f64 v[146:147], v[138:139], s[30:31]
	v_add_f64 v[2:3], v[2:3], v[88:89]
	v_mul_f64 v[88:89], v[138:139], s[10:11]
	v_add_f64 v[76:77], v[232:233], v[76:77]
	v_mul_f64 v[148:149], v[138:139], s[18:19]
	v_add_f64 v[120:121], v[184:185], v[120:121]
	v_mul_f64 v[138:139], v[138:139], s[38:39]
	v_fma_f64 v[136:137], v[140:141], s[6:7], v[136:137]
	v_fma_f64 v[154:155], v[98:99], s[22:23], v[124:125]
	v_add_f64 v[128:129], v[134:135], v[128:129]
	v_fma_f64 v[134:135], v[98:99], s[44:45], v[144:145]
	v_add_f64 v[52:53], v[52:53], v[116:117]
	v_add_f64 v[116:117], v[152:153], v[118:119]
	v_fma_f64 v[118:119], v[140:141], s[20:21], v[176:177]
	v_add_f64 v[114:115], v[178:179], v[114:115]
	v_add_f64 v[60:61], v[186:187], v[60:61]
	;; [unrolled: 1-line block ×7, first 2 shown]
	s_clause 0x1
	buffer_load_dword v54, off, s[48:51], 0 offset:8
	buffer_load_dword v55, off, s[48:51], 0 offset:12
	v_add_f64 v[142:143], v[188:189], v[192:193]
	v_add_f64 v[152:153], v[222:223], v[206:207]
	;; [unrolled: 1-line block ×3, first 2 shown]
	v_fma_f64 v[124:125], v[98:99], s[20:21], v[124:125]
	v_fma_f64 v[144:145], v[98:99], s[40:41], v[144:145]
	;; [unrolled: 1-line block ×9, first 2 shown]
	v_add_f64 v[2:3], v[136:137], v[2:3]
	v_fma_f64 v[98:99], v[98:99], s[34:35], v[138:139]
	v_mul_f64 v[136:137], v[92:93], s[38:39]
	v_mul_f64 v[186:187], v[92:93], s[10:11]
	v_add_f64 v[76:77], v[154:155], v[76:77]
	v_mul_f64 v[154:155], v[92:93], s[42:43]
	v_add_f64 v[120:121], v[134:135], v[120:121]
	v_add_f64 v[118:119], v[118:119], v[208:209]
	v_mul_f64 v[200:201], v[0:1], s[38:39]
	v_mul_f64 v[218:219], v[0:1], s[18:19]
	;; [unrolled: 1-line block ×4, first 2 shown]
	v_fma_f64 v[198:199], v[84:85], s[6:7], v[198:199]
	v_add_f64 v[80:81], v[124:125], v[80:81]
	v_add_f64 v[72:73], v[144:145], v[72:73]
	v_add_f64 v[64:65], v[204:205], v[64:65]
                                        ; implicit-def: $vgpr188_vgpr189
	v_add_f64 v[124:125], v[178:179], v[142:143]
	v_add_f64 v[88:89], v[88:89], v[152:153]
	;; [unrolled: 1-line block ×6, first 2 shown]
	v_fma_f64 v[150:151], v[84:85], s[36:37], v[200:201]
	v_fma_f64 v[200:201], v[84:85], s[34:35], v[200:201]
	;; [unrolled: 1-line block ×6, first 2 shown]
	v_add_f64 v[102:103], v[102:103], v[110:111]
	s_waitcnt vmcnt(2)
	v_add_f64 v[132:133], v[132:133], v[82:83]
	v_add_f64 v[132:133], v[132:133], v[78:79]
	;; [unrolled: 1-line block ×3, first 2 shown]
	s_waitcnt vmcnt(0)
	v_add_f64 v[56:57], v[54:55], -v[130:131]
	s_clause 0x1
	buffer_load_dword v54, off, s[48:51], 0
	buffer_load_dword v55, off, s[48:51], 0 offset:4
	v_add_f64 v[132:133], v[132:133], v[74:75]
	v_mul_f64 v[130:131], v[92:93], s[30:31]
	v_add_f64 v[74:75], v[94:95], v[74:75]
	v_add_f64 v[94:95], v[176:177], v[122:123]
	;; [unrolled: 1-line block ×3, first 2 shown]
	s_waitcnt vmcnt(0) lgkmcnt(0)
	s_waitcnt_vscnt null, 0x0
	s_barrier
	buffer_gl0_inv
	v_fma_f64 v[98:99], v[56:57], s[34:35], v[136:137]
	v_fma_f64 v[136:137], v[56:57], s[36:37], v[136:137]
	v_add_f64 v[70:71], v[132:133], v[70:71]
	v_mul_f64 v[132:133], v[92:93], s[24:25]
	v_mul_f64 v[92:93], v[92:93], s[18:19]
	v_fma_f64 v[134:135], v[56:57], s[28:29], v[130:131]
	v_fma_f64 v[130:131], v[56:57], s[26:27], v[130:131]
	;; [unrolled: 1-line block ×6, first 2 shown]
	v_mul_f64 v[154:155], v[74:75], s[24:25]
	v_mul_f64 v[176:177], v[74:75], s[18:19]
                                        ; implicit-def: $vgpr186_vgpr187
	v_add_f64 v[98:99], v[98:99], v[120:121]
	v_add_f64 v[72:73], v[136:137], v[72:73]
	;; [unrolled: 1-line block ×3, first 2 shown]
	v_fma_f64 v[144:145], v[56:57], s[22:23], v[132:133]
	v_fma_f64 v[132:133], v[56:57], s[20:21], v[132:133]
	;; [unrolled: 1-line block ×4, first 2 shown]
	v_mul_f64 v[92:93], v[74:75], s[38:39]
	v_mul_f64 v[70:71], v[74:75], s[42:43]
	v_add_f64 v[76:77], v[134:135], v[76:77]
	v_mul_f64 v[134:135], v[74:75], s[10:11]
	v_mul_f64 v[74:75], v[74:75], s[30:31]
	v_add_f64 v[82:83], v[140:141], v[94:95]
	v_add_f64 v[94:95], v[142:143], v[122:123]
	;; [unrolled: 1-line block ×5, first 2 shown]
	v_fma_f64 v[126:127], v[90:91], s[20:21], v[154:155]
	v_fma_f64 v[130:131], v[90:91], s[16:17], v[176:177]
	v_mul_f64 v[146:147], v[78:79], s[18:19]
	v_fma_f64 v[148:149], v[84:85], s[20:21], v[0:1]
	v_fma_f64 v[0:1], v[84:85], s[22:23], v[0:1]
	v_add_f64 v[62:63], v[66:67], v[62:63]
	v_add_f64 v[120:121], v[144:145], v[124:125]
	;; [unrolled: 1-line block ×5, first 2 shown]
	v_fma_f64 v[56:57], v[90:91], s[36:37], v[92:93]
	v_fma_f64 v[92:93], v[90:91], s[34:35], v[92:93]
	;; [unrolled: 1-line block ×10, first 2 shown]
	v_mul_f64 v[90:91], v[78:79], s[10:11]
	v_mul_f64 v[144:145], v[78:79], s[38:39]
	;; [unrolled: 1-line block ×3, first 2 shown]
	v_add_f64 v[110:111], v[148:149], v[114:115]
	v_add_f64 v[0:1], v[0:1], v[52:53]
	;; [unrolled: 1-line block ×15, first 2 shown]
	v_add_f64 v[54:55], v[54:55], -v[86:87]
	v_mul_f64 v[86:87], v[78:79], s[42:43]
	v_mul_f64 v[78:79], v[78:79], s[24:25]
	v_fma_f64 v[98:99], v[54:55], s[4:5], v[90:91]
	v_fma_f64 v[74:75], v[54:55], s[44:45], v[86:87]
	;; [unrolled: 1-line block ×12, first 2 shown]
	v_add_f64 v[86:87], v[198:199], v[96:97]
	v_add_f64 v[96:97], v[150:151], v[100:101]
	;; [unrolled: 1-line block ×18, first 2 shown]
	ds_write2_b64 v162, v[68:69], v[64:65] offset1:26
	ds_write2_b64 v162, v[116:117], v[96:97] offset0:52 offset1:78
	ds_write2_b64 v162, v[104:105], v[102:103] offset0:104 offset1:130
	;; [unrolled: 1-line block ×5, first 2 shown]
	ds_write_b64 v162, v[60:61] offset:2496
	ds_write2_b64 v164, v[52:53], v[56:57] offset1:26
	ds_write2_b64 v164, v[58:59], v[62:63] offset0:52 offset1:78
	ds_write2_b64 v164, v[72:73], v[74:75] offset0:104 offset1:130
	;; [unrolled: 1-line block ×5, first 2 shown]
	ds_write_b64 v164, v[184:185] offset:2496
	s_waitcnt lgkmcnt(0)
	s_barrier
	buffer_gl0_inv
	ds_read2_b64 v[56:59], v156 offset1:52
	ds_read2_b64 v[76:79], v158 offset0:82 offset1:134
	ds_read2_b64 v[72:75], v159 offset0:164 offset1:216
	;; [unrolled: 1-line block ×11, first 2 shown]
	s_and_saveexec_b32 s1, s0
	s_cbranch_execz .LBB0_17
; %bb.16:
	ds_read_b64 v[180:181], v156 offset:2496
	ds_read_b64 v[184:185], v156 offset:5200
	;; [unrolled: 1-line block ×4, first 2 shown]
	v_add_nc_u32_e32 v191, 0x138, v190
.LBB0_17:
	s_or_b32 exec_lo, exec_lo, s1
	s_and_saveexec_b32 s0, vcc_lo
	s_cbranch_execz .LBB0_20
; %bb.18:
	v_add_nc_u32_e32 v129, 0x104, v190
	v_mov_b32_e32 v183, 0
	v_mul_u32_u24_e32 v128, 3, v190
	v_mul_lo_u32 v192, s2, v171
	v_mul_hi_u32 v196, 0x60f25deb, v190
	v_mul_u32_u24_e32 v96, 3, v129
	v_mad_u32_u24 v182, v129, 3, 0xffffff64
	v_lshlrev_b32_e32 v128, 4, v128
	v_add_nc_u32_e32 v199, 52, v190
	v_add_nc_u32_e32 v202, 0x68, v190
	v_lshlrev_b32_e32 v96, 4, v96
	v_add_nc_u32_e32 v204, 0x9c, v190
	v_lshlrev_b64 v[176:177], 4, v[168:169]
	v_mul_hi_u32 v207, 0x60f25deb, v199
	v_add_nc_u32_e32 v205, 0xd0, v190
	v_add_co_u32 v100, s0, s8, v96
	v_add_co_ci_u32_e64 v101, null, s9, 0, s0
	v_lshlrev_b64 v[96:97], 4, v[182:183]
	v_add_co_u32 v98, vcc_lo, 0x1500, v100
	v_add_co_ci_u32_e32 v99, vcc_lo, 0, v101, vcc_lo
	v_mad_u32_u24 v182, v129, 3, 0xfffffec8
	v_add_co_u32 v102, vcc_lo, s8, v96
	v_add_co_ci_u32_e32 v103, vcc_lo, s9, v97, vcc_lo
	v_add_co_u32 v108, vcc_lo, 0x1000, v100
	v_add_co_ci_u32_e32 v109, vcc_lo, 0, v101, vcc_lo
	v_add_co_u32 v96, vcc_lo, 0x1000, v102
	v_lshlrev_b64 v[120:121], 4, v[182:183]
	v_add_co_ci_u32_e32 v97, vcc_lo, 0, v103, vcc_lo
	v_add_co_u32 v116, vcc_lo, 0x1500, v102
	v_add_co_ci_u32_e32 v117, vcc_lo, 0, v103, vcc_lo
	v_add_co_u32 v120, vcc_lo, s8, v120
	v_mad_u32_u24 v182, v129, 3, 0xfffffe2c
	v_add_co_ci_u32_e32 v121, vcc_lo, s9, v121, vcc_lo
	v_add_co_u32 v136, vcc_lo, 0x1500, v120
	v_lshlrev_b64 v[124:125], 4, v[182:183]
	v_add_co_ci_u32_e32 v137, vcc_lo, 0, v121, vcc_lo
	v_add_co_u32 v126, vcc_lo, 0x1000, v120
	v_add_co_ci_u32_e32 v127, vcc_lo, 0, v121, vcc_lo
	v_add_co_u32 v130, vcc_lo, s8, v124
	v_add_co_u32 v124, s0, s8, v128
	v_add_co_ci_u32_e32 v131, vcc_lo, s9, v125, vcc_lo
	v_add_co_ci_u32_e64 v125, null, s9, 0, s0
	v_add_co_u32 v138, vcc_lo, 0x1500, v124
	v_mad_u32_u24 v182, v129, 3, 0xfffffd90
	v_add_co_ci_u32_e32 v139, vcc_lo, 0, v125, vcc_lo
	v_add_co_u32 v124, vcc_lo, 0x1000, v124
	s_clause 0x5
	global_load_dwordx4 v[100:103], v[98:99], off offset:32
	global_load_dwordx4 v[112:115], v[98:99], off offset:16
	global_load_dwordx4 v[104:107], v[96:97], off offset:1280
	global_load_dwordx4 v[96:99], v[116:117], off offset:32
	global_load_dwordx4 v[108:111], v[108:109], off offset:1280
	global_load_dwordx4 v[116:119], v[116:117], off offset:16
	v_add_co_ci_u32_e32 v125, vcc_lo, 0, v125, vcc_lo
	v_add_co_u32 v128, vcc_lo, 0x1000, v130
	v_lshlrev_b64 v[132:133], 4, v[182:183]
	global_load_dwordx4 v[120:123], v[136:137], off offset:16
	v_add_co_ci_u32_e32 v129, vcc_lo, 0, v131, vcc_lo
	s_clause 0x1
	global_load_dwordx4 v[144:147], v[124:125], off offset:1280
	global_load_dwordx4 v[152:155], v[138:139], off offset:32
	v_add_co_u32 v156, vcc_lo, 0x1500, v130
	v_add_co_ci_u32_e32 v157, vcc_lo, 0, v131, vcc_lo
	v_add_co_u32 v142, vcc_lo, s8, v132
	v_add_co_ci_u32_e32 v143, vcc_lo, s9, v133, vcc_lo
	global_load_dwordx4 v[128:131], v[128:129], off offset:1280
	v_add_co_u32 v140, vcc_lo, 0x1500, v142
	v_add_co_ci_u32_e32 v141, vcc_lo, 0, v143, vcc_lo
	v_add_co_u32 v142, vcc_lo, 0x1000, v142
	v_add_co_ci_u32_e32 v143, vcc_lo, 0, v143, vcc_lo
	s_clause 0x7
	global_load_dwordx4 v[124:127], v[126:127], off offset:1280
	global_load_dwordx4 v[132:135], v[156:157], off offset:16
	;; [unrolled: 1-line block ×8, first 2 shown]
	v_mul_lo_u32 v182, s3, v170
	v_mad_u64_u32 v[170:171], null, s2, v170, 0
	v_add_nc_u32_e32 v206, 0x104, v190
	v_lshrrev_b32_e32 v169, 7, v196
	v_mul_hi_u32 v208, 0x60f25deb, v202
	v_mul_hi_u32 v209, 0x60f25deb, v204
	;; [unrolled: 1-line block ×4, first 2 shown]
	v_add3_u32 v171, v171, v192, v182
	v_mul_u32_u24_e32 v182, 0x152, v169
	v_lshrrev_b32_e32 v192, 7, v207
	v_mov_b32_e32 v178, v183
	v_lshrrev_b32_e32 v196, 7, v208
	v_lshlrev_b64 v[169:170], 4, v[170:171]
	v_lshrrev_b32_e32 v222, 7, v209
	v_sub_nc_u32_e32 v171, v190, v182
	v_mul_u32_u24_e32 v182, 0x152, v192
	v_lshrrev_b32_e32 v228, 7, v210
	v_lshrrev_b32_e32 v232, 7, v211
	v_add_co_u32 v169, s0, s14, v169
	v_add_co_ci_u32_e64 v211, s0, s15, v170, s0
	v_mul_u32_u24_e32 v207, 0x152, v196
	v_mul_u32_u24_e32 v208, 0x152, v222
	v_lshlrev_b32_e32 v212, 4, v171
	v_add_co_u32 v170, s0, v169, v176
	v_sub_nc_u32_e32 v182, v199, v182
	v_mul_u32_u24_e32 v209, 0x152, v228
	v_add_co_ci_u32_e64 v171, s0, v211, v177, s0
	v_sub_nc_u32_e32 v199, v202, v207
	v_sub_nc_u32_e32 v202, v204, v208
	v_add_co_u32 v204, s0, v170, v212
	v_mad_u32_u24 v182, 0x548, v192, v182
	v_sub_nc_u32_e32 v229, v205, v209
	v_add_co_ci_u32_e64 v205, s0, 0, v171, s0
	v_mul_u32_u24_e32 v210, 0x152, v232
	v_add_co_u32 v208, s0, 0x1000, v204
	v_add_nc_u32_e32 v177, 0x152, v182
	v_add_co_ci_u32_e64 v209, s0, 0, v205, s0
	v_sub_nc_u32_e32 v233, v206, v210
	v_lshlrev_b64 v[206:207], 4, v[182:183]
	v_add_nc_u32_e32 v192, 0x2a4, v182
	v_add_nc_u32_e32 v182, 0x3f6, v182
	v_add_co_u32 v210, s0, 0x2800, v204
	v_mov_b32_e32 v193, v183
	v_add_co_ci_u32_e64 v211, s0, 0, v205, s0
	v_add_co_u32 v212, s0, 0x3800, v204
	v_lshlrev_b64 v[176:177], 4, v[177:178]
	v_add_co_ci_u32_e64 v213, s0, 0, v205, s0
	v_lshlrev_b64 v[216:217], 4, v[182:183]
	v_mad_u32_u24 v182, 0x548, v196, v199
	v_lshlrev_b64 v[214:215], 4, v[192:193]
	v_add_co_u32 v206, s0, v170, v206
	v_add_co_ci_u32_e64 v207, s0, v171, v207, s0
	v_add_co_u32 v176, s0, v170, v176
	v_mov_b32_e32 v179, v183
	v_add_nc_u32_e32 v178, 0x152, v182
	v_add_co_ci_u32_e64 v177, s0, v171, v177, s0
	v_lshlrev_b64 v[218:219], 4, v[182:183]
	v_add_nc_u32_e32 v193, 0x2a4, v182
	v_add_nc_u32_e32 v182, 0x3f6, v182
	v_add_co_u32 v214, s0, v170, v214
	v_mov_b32_e32 v194, v183
	v_add_co_ci_u32_e64 v215, s0, v171, v215, s0
	v_add_co_u32 v216, s0, v170, v216
	v_lshlrev_b64 v[178:179], 4, v[178:179]
	v_add_co_ci_u32_e64 v217, s0, v171, v217, s0
	v_lshlrev_b64 v[220:221], 4, v[182:183]
	v_mad_u32_u24 v182, 0x548, v222, v202
	v_lshlrev_b64 v[192:193], 4, v[193:194]
	v_add_co_u32 v218, s0, v170, v218
	v_add_co_ci_u32_e64 v219, s0, v171, v219, s0
	v_add_co_u32 v178, s0, v170, v178
	v_mov_b32_e32 v195, v183
	v_add_nc_u32_e32 v194, 0x152, v182
	v_add_co_ci_u32_e64 v179, s0, v171, v179, s0
	;; [unrolled: 18-line block ×4, first 2 shown]
	v_lshlrev_b64 v[232:233], 4, v[182:183]
	v_add_co_u32 v198, s0, v170, v198
	v_mov_b32_e32 v203, v183
	v_add_nc_u32_e32 v202, 0x2a4, v182
	v_add_co_ci_u32_e64 v199, s0, v171, v199, s0
	v_add_co_u32 v230, s0, v170, v230
	v_lshlrev_b64 v[200:201], 4, v[200:201]
	v_add_nc_u32_e32 v182, 0x3f6, v182
	v_add_co_ci_u32_e64 v231, s0, v171, v231, s0
	v_lshlrev_b64 v[202:203], 4, v[202:203]
	v_add_co_u32 v232, s0, v170, v232
	v_add_nc_u32_e32 v168, 0x138, v190
	v_add_co_ci_u32_e64 v233, s0, v171, v233, s0
	v_lshlrev_b64 v[234:235], 4, v[182:183]
	v_add_co_u32 v200, s0, v170, v200
	v_add_co_ci_u32_e64 v201, s0, v171, v201, s0
	v_cmp_gt_u32_e32 vcc_lo, 0x152, v168
	v_add_co_u32 v202, s0, v170, v202
	v_add_co_ci_u32_e64 v203, s0, v171, v203, s0
	v_add_co_u32 v234, s0, v170, v234
	v_add_co_ci_u32_e64 v235, s0, v171, v235, s0
	s_waitcnt vmcnt(15) lgkmcnt(2)
	v_mul_f64 v[244:245], v[88:89], v[106:107]
	v_mul_f64 v[106:107], v[44:45], v[106:107]
	;; [unrolled: 1-line block ×3, first 2 shown]
	s_waitcnt vmcnt(12)
	v_mul_f64 v[238:239], v[48:49], v[118:119]
	s_waitcnt lgkmcnt(1)
	v_mul_f64 v[118:119], v[92:93], v[118:119]
	v_mul_f64 v[240:241], v[90:91], v[110:111]
	;; [unrolled: 1-line block ×3, first 2 shown]
	s_waitcnt lgkmcnt(0)
	v_mul_f64 v[242:243], v[70:71], v[102:103]
	v_mul_f64 v[102:103], v[42:43], v[102:103]
	;; [unrolled: 1-line block ×3, first 2 shown]
	s_waitcnt vmcnt(10)
	v_mul_f64 v[246:247], v[20:21], v[144:145]
	v_mul_f64 v[20:21], v[20:21], v[146:147]
	s_waitcnt vmcnt(9)
	v_mul_f64 v[248:249], v[80:81], v[154:155]
	v_mul_f64 v[154:155], v[32:33], v[154:155]
	v_fma_f64 v[44:45], v[44:45], v[104:105], v[244:245]
	v_fma_f64 v[88:89], v[88:89], v[104:105], -v[106:107]
	v_fma_f64 v[94:95], v[94:95], v[112:113], -v[236:237]
	;; [unrolled: 1-line block ×3, first 2 shown]
	v_fma_f64 v[48:49], v[48:49], v[116:117], v[118:119]
	v_fma_f64 v[46:47], v[46:47], v[108:109], v[240:241]
	v_fma_f64 v[90:91], v[90:91], v[108:109], -v[110:111]
	s_waitcnt vmcnt(7)
	v_mul_f64 v[236:237], v[62:63], v[126:127]
	v_mul_f64 v[116:117], v[38:39], v[126:127]
	;; [unrolled: 1-line block ×4, first 2 shown]
	s_waitcnt vmcnt(4)
	v_mul_f64 v[130:131], v[78:79], v[162:163]
	v_mul_f64 v[104:105], v[22:23], v[162:163]
	s_waitcnt vmcnt(3)
	v_mul_f64 v[106:107], v[34:35], v[142:143]
	s_waitcnt vmcnt(2)
	v_mul_f64 v[162:163], v[16:17], v[166:167]
	v_mul_f64 v[166:167], v[72:73], v[166:167]
	;; [unrolled: 1-line block ×4, first 2 shown]
	v_fma_f64 v[42:43], v[42:43], v[100:101], v[242:243]
	v_fma_f64 v[70:71], v[70:71], v[100:101], -v[102:103]
	v_mul_f64 v[100:101], v[82:83], v[142:143]
	v_mul_f64 v[118:119], v[24:25], v[134:135]
	;; [unrolled: 1-line block ×3, first 2 shown]
	s_waitcnt vmcnt(1)
	v_mul_f64 v[102:103], v[28:29], v[158:159]
	v_fma_f64 v[142:143], v[76:77], v[146:147], v[246:247]
	v_fma_f64 v[20:21], v[76:77], v[144:145], -v[20:21]
	v_mul_f64 v[76:77], v[64:65], v[158:159]
	v_fma_f64 v[50:51], v[50:51], v[112:113], v[114:115]
	v_mul_f64 v[114:115], v[26:27], v[122:123]
	v_mul_f64 v[122:123], v[86:87], v[122:123]
	s_waitcnt vmcnt(0)
	v_mul_f64 v[144:145], v[30:31], v[138:139]
	v_mul_f64 v[138:139], v[66:67], v[138:139]
	v_mul_f64 v[112:113], v[68:69], v[98:99]
	v_mul_f64 v[98:99], v[40:41], v[98:99]
	v_fma_f64 v[32:33], v[32:33], v[152:153], v[248:249]
	v_fma_f64 v[80:81], v[80:81], v[152:153], -v[154:155]
	v_fma_f64 v[78:79], v[78:79], v[160:161], -v[104:105]
	v_fma_f64 v[82:83], v[82:83], v[140:141], -v[106:107]
	v_fma_f64 v[72:73], v[72:73], v[164:165], -v[162:163]
	v_fma_f64 v[16:17], v[16:17], v[164:165], v[166:167]
	v_fma_f64 v[74:75], v[74:75], v[148:149], -v[110:111]
	v_fma_f64 v[22:23], v[22:23], v[160:161], v[130:131]
	v_fma_f64 v[18:19], v[18:19], v[148:149], v[150:151]
	;; [unrolled: 1-line block ×3, first 2 shown]
	v_fma_f64 v[84:85], v[84:85], v[132:133], -v[118:119]
	v_fma_f64 v[36:37], v[36:37], v[128:129], v[126:127]
	v_fma_f64 v[60:61], v[60:61], v[128:129], -v[108:109]
	v_fma_f64 v[64:65], v[64:65], v[156:157], -v[102:103]
	v_fma_f64 v[24:25], v[24:25], v[132:133], v[134:135]
	v_fma_f64 v[28:29], v[28:29], v[156:157], v[76:77]
	v_fma_f64 v[86:87], v[86:87], v[120:121], -v[114:115]
	v_fma_f64 v[38:39], v[38:39], v[124:125], v[236:237]
	v_fma_f64 v[62:63], v[62:63], v[124:125], -v[116:117]
	v_fma_f64 v[66:67], v[66:67], v[136:137], -v[144:145]
	v_fma_f64 v[26:27], v[26:27], v[120:121], v[122:123]
	v_fma_f64 v[30:31], v[30:31], v[136:137], v[138:139]
	v_fma_f64 v[40:41], v[40:41], v[96:97], v[112:113]
	v_fma_f64 v[68:69], v[68:69], v[96:97], -v[98:99]
	v_add_f64 v[94:95], v[54:55], -v[94:95]
	v_add_f64 v[96:97], v[10:11], -v[50:51]
	;; [unrolled: 1-line block ×24, first 2 shown]
	v_fma_f64 v[104:105], v[54:55], 2.0, -v[94:95]
	v_fma_f64 v[26:27], v[142:143], 2.0, -v[32:33]
	;; [unrolled: 1-line block ×21, first 2 shown]
	v_add_f64 v[16:17], v[96:97], v[50:51]
	v_fma_f64 v[50:51], v[90:91], 2.0, -v[50:51]
	v_fma_f64 v[116:117], v[10:11], 2.0, -v[96:97]
	;; [unrolled: 1-line block ×3, first 2 shown]
	v_add_f64 v[6:7], v[72:73], -v[32:33]
	v_add_f64 v[4:5], v[92:93], v[70:71]
	v_add_f64 v[14:15], v[56:57], -v[20:21]
	v_add_f64 v[12:13], v[78:79], -v[26:27]
	;; [unrolled: 1-line block ×5, first 2 shown]
	v_add_f64 v[0:1], v[82:83], v[76:77]
	v_add_f64 v[22:23], v[84:85], -v[24:25]
	v_add_f64 v[26:27], v[106:107], -v[58:59]
	v_add_f64 v[24:25], v[108:109], -v[36:37]
	v_add_f64 v[20:21], v[98:99], v[64:65]
	v_add_f64 v[34:35], v[110:111], -v[60:61]
	v_add_f64 v[30:31], v[86:87], -v[30:31]
	v_add_f64 v[32:33], v[112:113], -v[38:39]
	;; [unrolled: 4-line block ×3, first 2 shown]
	v_add_f64 v[40:41], v[88:89], -v[44:45]
	v_add_f64 v[36:37], v[102:103], v[66:67]
	v_add_f64 v[46:47], v[104:105], -v[50:51]
	v_add_f64 v[44:45], v[116:117], -v[62:63]
	v_fma_f64 v[54:55], v[72:73], 2.0, -v[6:7]
	v_fma_f64 v[52:53], v[92:93], 2.0, -v[4:5]
	;; [unrolled: 1-line block ×24, first 2 shown]
	global_store_dwordx4 v[212:213], v[4:7], off offset:1888
	global_store_dwordx4 v[208:209], v[52:55], off offset:1312
	;; [unrolled: 1-line block ×3, first 2 shown]
	global_store_dwordx4 v[204:205], v[60:63], off
	global_store_dwordx4 v[206:207], v[56:59], off
	;; [unrolled: 1-line block ×21, first 2 shown]
	s_and_b32 exec_lo, exec_lo, vcc_lo
	s_cbranch_execz .LBB0_20
; %bb.19:
	v_mul_i32_i24_e32 v182, 3, v191
	v_mov_b32_e32 v169, v183
	v_lshlrev_b64 v[0:1], 4, v[182:183]
	v_add_nc_u32_e32 v182, 0x28a, v190
	v_lshlrev_b64 v[22:23], 4, v[182:183]
	v_add_co_u32 v2, vcc_lo, s8, v0
	v_add_co_ci_u32_e32 v3, vcc_lo, s9, v1, vcc_lo
	v_add_nc_u32_e32 v182, 0x3dc, v190
	v_add_co_u32 v0, vcc_lo, 0x1000, v2
	v_add_co_ci_u32_e32 v1, vcc_lo, 0, v3, vcc_lo
	v_add_co_u32 v8, vcc_lo, 0x1500, v2
	v_add_co_ci_u32_e32 v9, vcc_lo, 0, v3, vcc_lo
	s_clause 0x2
	global_load_dwordx4 v[0:3], v[0:1], off offset:1280
	global_load_dwordx4 v[4:7], v[8:9], off offset:16
	;; [unrolled: 1-line block ×3, first 2 shown]
	s_clause 0x3
	buffer_load_dword v18, off, s[48:51], 0 offset:24
	buffer_load_dword v19, off, s[48:51], 0 offset:28
	;; [unrolled: 1-line block ×4, first 2 shown]
	s_waitcnt vmcnt(6)
	v_mul_f64 v[12:13], v[184:185], v[2:3]
	v_mul_f64 v[2:3], v[174:175], v[2:3]
	s_waitcnt vmcnt(5)
	v_mul_f64 v[14:15], v[186:187], v[6:7]
	s_waitcnt vmcnt(2)
	v_mul_f64 v[6:7], v[18:19], v[6:7]
	v_mul_f64 v[16:17], v[188:189], v[10:11]
	s_waitcnt vmcnt(0)
	v_mul_f64 v[10:11], v[20:21], v[10:11]
	v_fma_f64 v[12:13], v[174:175], v[0:1], v[12:13]
	v_fma_f64 v[0:1], v[184:185], v[0:1], -v[2:3]
	v_fma_f64 v[2:3], v[18:19], v[4:5], v[14:15]
	v_fma_f64 v[4:5], v[186:187], v[4:5], -v[6:7]
	;; [unrolled: 2-line block ×3, first 2 shown]
	v_lshlrev_b64 v[20:21], 4, v[168:169]
	v_add_f64 v[10:11], v[172:173], -v[2:3]
	v_add_f64 v[14:15], v[180:181], -v[4:5]
	;; [unrolled: 1-line block ×4, first 2 shown]
	v_fma_f64 v[16:17], v[172:173], 2.0, -v[10:11]
	v_fma_f64 v[18:19], v[180:181], 2.0, -v[14:15]
	v_fma_f64 v[6:7], v[12:13], 2.0, -v[2:3]
	v_fma_f64 v[8:9], v[0:1], 2.0, -v[4:5]
	v_add_f64 v[0:1], v[10:11], v[4:5]
	v_add_f64 v[2:3], v[14:15], -v[2:3]
	v_add_f64 v[4:5], v[16:17], -v[6:7]
	;; [unrolled: 1-line block ×3, first 2 shown]
	v_fma_f64 v[8:9], v[10:11], 2.0, -v[0:1]
	v_fma_f64 v[10:11], v[14:15], 2.0, -v[2:3]
	;; [unrolled: 1-line block ×4, first 2 shown]
	v_add_co_u32 v16, vcc_lo, v170, v20
	v_lshlrev_b64 v[18:19], 4, v[182:183]
	v_add_nc_u32_e32 v182, 0x52e, v190
	v_add_co_ci_u32_e32 v17, vcc_lo, v171, v21, vcc_lo
	v_add_co_u32 v20, vcc_lo, v170, v22
	v_add_co_ci_u32_e32 v21, vcc_lo, v171, v23, vcc_lo
	v_lshlrev_b64 v[22:23], 4, v[182:183]
	v_add_co_u32 v18, vcc_lo, v170, v18
	v_add_co_ci_u32_e32 v19, vcc_lo, v171, v19, vcc_lo
	v_add_co_u32 v22, vcc_lo, v170, v22
	v_add_co_ci_u32_e32 v23, vcc_lo, v171, v23, vcc_lo
	global_store_dwordx4 v[20:21], v[8:11], off
	global_store_dwordx4 v[18:19], v[4:7], off
	;; [unrolled: 1-line block ×4, first 2 shown]
.LBB0_20:
	s_endpgm
	.section	.rodata,"a",@progbits
	.p2align	6, 0x0
	.amdhsa_kernel fft_rtc_back_len1352_factors_2_13_13_4_wgs_52_tpt_52_halfLds_dp_op_CI_CI_unitstride_sbrr_dirReg
		.amdhsa_group_segment_fixed_size 0
		.amdhsa_private_segment_fixed_size 44
		.amdhsa_kernarg_size 104
		.amdhsa_user_sgpr_count 6
		.amdhsa_user_sgpr_private_segment_buffer 1
		.amdhsa_user_sgpr_dispatch_ptr 0
		.amdhsa_user_sgpr_queue_ptr 0
		.amdhsa_user_sgpr_kernarg_segment_ptr 1
		.amdhsa_user_sgpr_dispatch_id 0
		.amdhsa_user_sgpr_flat_scratch_init 0
		.amdhsa_user_sgpr_private_segment_size 0
		.amdhsa_wavefront_size32 1
		.amdhsa_uses_dynamic_stack 0
		.amdhsa_system_sgpr_private_segment_wavefront_offset 1
		.amdhsa_system_sgpr_workgroup_id_x 1
		.amdhsa_system_sgpr_workgroup_id_y 0
		.amdhsa_system_sgpr_workgroup_id_z 0
		.amdhsa_system_sgpr_workgroup_info 0
		.amdhsa_system_vgpr_workitem_id 0
		.amdhsa_next_free_vgpr 256
		.amdhsa_next_free_sgpr 52
		.amdhsa_reserve_vcc 1
		.amdhsa_reserve_flat_scratch 0
		.amdhsa_float_round_mode_32 0
		.amdhsa_float_round_mode_16_64 0
		.amdhsa_float_denorm_mode_32 3
		.amdhsa_float_denorm_mode_16_64 3
		.amdhsa_dx10_clamp 1
		.amdhsa_ieee_mode 1
		.amdhsa_fp16_overflow 0
		.amdhsa_workgroup_processor_mode 1
		.amdhsa_memory_ordered 1
		.amdhsa_forward_progress 0
		.amdhsa_shared_vgpr_count 0
		.amdhsa_exception_fp_ieee_invalid_op 0
		.amdhsa_exception_fp_denorm_src 0
		.amdhsa_exception_fp_ieee_div_zero 0
		.amdhsa_exception_fp_ieee_overflow 0
		.amdhsa_exception_fp_ieee_underflow 0
		.amdhsa_exception_fp_ieee_inexact 0
		.amdhsa_exception_int_div_zero 0
	.end_amdhsa_kernel
	.text
.Lfunc_end0:
	.size	fft_rtc_back_len1352_factors_2_13_13_4_wgs_52_tpt_52_halfLds_dp_op_CI_CI_unitstride_sbrr_dirReg, .Lfunc_end0-fft_rtc_back_len1352_factors_2_13_13_4_wgs_52_tpt_52_halfLds_dp_op_CI_CI_unitstride_sbrr_dirReg
                                        ; -- End function
	.section	.AMDGPU.csdata,"",@progbits
; Kernel info:
; codeLenInByte = 23280
; NumSgprs: 54
; NumVgprs: 256
; ScratchSize: 44
; MemoryBound: 1
; FloatMode: 240
; IeeeMode: 1
; LDSByteSize: 0 bytes/workgroup (compile time only)
; SGPRBlocks: 6
; VGPRBlocks: 31
; NumSGPRsForWavesPerEU: 54
; NumVGPRsForWavesPerEU: 256
; Occupancy: 4
; WaveLimiterHint : 1
; COMPUTE_PGM_RSRC2:SCRATCH_EN: 1
; COMPUTE_PGM_RSRC2:USER_SGPR: 6
; COMPUTE_PGM_RSRC2:TRAP_HANDLER: 0
; COMPUTE_PGM_RSRC2:TGID_X_EN: 1
; COMPUTE_PGM_RSRC2:TGID_Y_EN: 0
; COMPUTE_PGM_RSRC2:TGID_Z_EN: 0
; COMPUTE_PGM_RSRC2:TIDIG_COMP_CNT: 0
	.text
	.p2alignl 6, 3214868480
	.fill 48, 4, 3214868480
	.type	__hip_cuid_b67c60800b43858f,@object ; @__hip_cuid_b67c60800b43858f
	.section	.bss,"aw",@nobits
	.globl	__hip_cuid_b67c60800b43858f
__hip_cuid_b67c60800b43858f:
	.byte	0                               ; 0x0
	.size	__hip_cuid_b67c60800b43858f, 1

	.ident	"AMD clang version 19.0.0git (https://github.com/RadeonOpenCompute/llvm-project roc-6.4.0 25133 c7fe45cf4b819c5991fe208aaa96edf142730f1d)"
	.section	".note.GNU-stack","",@progbits
	.addrsig
	.addrsig_sym __hip_cuid_b67c60800b43858f
	.amdgpu_metadata
---
amdhsa.kernels:
  - .args:
      - .actual_access:  read_only
        .address_space:  global
        .offset:         0
        .size:           8
        .value_kind:     global_buffer
      - .offset:         8
        .size:           8
        .value_kind:     by_value
      - .actual_access:  read_only
        .address_space:  global
        .offset:         16
        .size:           8
        .value_kind:     global_buffer
      - .actual_access:  read_only
        .address_space:  global
        .offset:         24
        .size:           8
        .value_kind:     global_buffer
      - .actual_access:  read_only
        .address_space:  global
        .offset:         32
        .size:           8
        .value_kind:     global_buffer
      - .offset:         40
        .size:           8
        .value_kind:     by_value
      - .actual_access:  read_only
        .address_space:  global
        .offset:         48
        .size:           8
        .value_kind:     global_buffer
      - .actual_access:  read_only
        .address_space:  global
        .offset:         56
        .size:           8
        .value_kind:     global_buffer
      - .offset:         64
        .size:           4
        .value_kind:     by_value
      - .actual_access:  read_only
        .address_space:  global
        .offset:         72
        .size:           8
        .value_kind:     global_buffer
      - .actual_access:  read_only
        .address_space:  global
        .offset:         80
        .size:           8
        .value_kind:     global_buffer
      - .actual_access:  read_only
        .address_space:  global
        .offset:         88
        .size:           8
        .value_kind:     global_buffer
      - .actual_access:  write_only
        .address_space:  global
        .offset:         96
        .size:           8
        .value_kind:     global_buffer
    .group_segment_fixed_size: 0
    .kernarg_segment_align: 8
    .kernarg_segment_size: 104
    .language:       OpenCL C
    .language_version:
      - 2
      - 0
    .max_flat_workgroup_size: 52
    .name:           fft_rtc_back_len1352_factors_2_13_13_4_wgs_52_tpt_52_halfLds_dp_op_CI_CI_unitstride_sbrr_dirReg
    .private_segment_fixed_size: 44
    .sgpr_count:     54
    .sgpr_spill_count: 0
    .symbol:         fft_rtc_back_len1352_factors_2_13_13_4_wgs_52_tpt_52_halfLds_dp_op_CI_CI_unitstride_sbrr_dirReg.kd
    .uniform_work_group_size: 1
    .uses_dynamic_stack: false
    .vgpr_count:     256
    .vgpr_spill_count: 10
    .wavefront_size: 32
    .workgroup_processor_mode: 1
amdhsa.target:   amdgcn-amd-amdhsa--gfx1030
amdhsa.version:
  - 1
  - 2
...

	.end_amdgpu_metadata
